;; amdgpu-corpus repo=ROCm/AMDMIGraphX kind=compiled arch=gfx1030 opt=O3
	.text
	.amdgcn_target "amdgcn-amd-amdhsa--gfx1030"
	.amdhsa_code_object_version 6
	.p2align	2                               ; -- Begin function _ZNK8migraphx13basic_printerIZNS_4coutEvEUlT_E_ElsEPKc
	.type	_ZNK8migraphx13basic_printerIZNS_4coutEvEUlT_E_ElsEPKc,@function
_ZNK8migraphx13basic_printerIZNS_4coutEvEUlT_E_ElsEPKc: ; @_ZNK8migraphx13basic_printerIZNS_4coutEvEUlT_E_ElsEPKc
; %bb.0:
	s_waitcnt vmcnt(0) expcnt(0) lgkmcnt(0)
	s_load_dwordx2 s[6:7], s[8:9], 0x50
	v_mbcnt_lo_u32_b32 v33, -1, 0
	v_mov_b32_e32 v8, 0
	v_mov_b32_e32 v9, 0
	v_readfirstlane_b32 s4, v33
	v_cmp_eq_u32_e64 s4, s4, v33
	s_and_saveexec_b32 s5, s4
	s_cbranch_execz .LBB0_6
; %bb.1:
	v_mov_b32_e32 v2, 0
	s_mov_b32 s8, exec_lo
	s_waitcnt lgkmcnt(0)
	global_load_dwordx2 v[5:6], v2, s[6:7] offset:24 glc dlc
	s_waitcnt vmcnt(0)
	buffer_gl1_inv
	buffer_gl0_inv
	s_clause 0x1
	global_load_dwordx2 v[3:4], v2, s[6:7] offset:40
	global_load_dwordx2 v[7:8], v2, s[6:7]
	s_waitcnt vmcnt(1)
	v_and_b32_e32 v4, v4, v6
	v_and_b32_e32 v3, v3, v5
	v_mul_lo_u32 v4, v4, 24
	v_mul_hi_u32 v9, v3, 24
	v_mul_lo_u32 v3, v3, 24
	v_add_nc_u32_e32 v4, v9, v4
	s_waitcnt vmcnt(0)
	v_add_co_u32 v3, vcc_lo, v7, v3
	v_add_co_ci_u32_e32 v4, vcc_lo, v8, v4, vcc_lo
	global_load_dwordx2 v[3:4], v[3:4], off glc dlc
	s_waitcnt vmcnt(0)
	global_atomic_cmpswap_x2 v[8:9], v2, v[3:6], s[6:7] offset:24 glc
	s_waitcnt vmcnt(0)
	buffer_gl1_inv
	buffer_gl0_inv
	v_cmpx_ne_u64_e64 v[8:9], v[5:6]
	s_cbranch_execz .LBB0_5
; %bb.2:
	s_mov_b32 s9, 0
	.p2align	6
.LBB0_3:                                ; =>This Inner Loop Header: Depth=1
	s_sleep 1
	s_clause 0x1
	global_load_dwordx2 v[3:4], v2, s[6:7] offset:40
	global_load_dwordx2 v[10:11], v2, s[6:7]
	v_mov_b32_e32 v5, v8
	v_mov_b32_e32 v6, v9
	s_waitcnt vmcnt(1)
	v_and_b32_e32 v3, v3, v5
	v_and_b32_e32 v4, v4, v6
	s_waitcnt vmcnt(0)
	v_mad_u64_u32 v[7:8], null, v3, 24, v[10:11]
	v_mov_b32_e32 v3, v8
	v_mad_u64_u32 v[3:4], null, v4, 24, v[3:4]
	v_mov_b32_e32 v8, v3
	global_load_dwordx2 v[3:4], v[7:8], off glc dlc
	s_waitcnt vmcnt(0)
	global_atomic_cmpswap_x2 v[8:9], v2, v[3:6], s[6:7] offset:24 glc
	s_waitcnt vmcnt(0)
	buffer_gl1_inv
	buffer_gl0_inv
	v_cmp_eq_u64_e32 vcc_lo, v[8:9], v[5:6]
	s_or_b32 s9, vcc_lo, s9
	s_andn2_b32 exec_lo, exec_lo, s9
	s_cbranch_execnz .LBB0_3
; %bb.4:
	s_or_b32 exec_lo, exec_lo, s9
.LBB0_5:
	s_or_b32 exec_lo, exec_lo, s8
.LBB0_6:
	s_or_b32 exec_lo, exec_lo, s5
	v_mov_b32_e32 v7, 0
	v_readfirstlane_b32 s8, v8
	v_readfirstlane_b32 s9, v9
	s_mov_b32 s5, exec_lo
	s_waitcnt lgkmcnt(0)
	s_clause 0x1
	global_load_dwordx2 v[10:11], v7, s[6:7] offset:40
	global_load_dwordx4 v[2:5], v7, s[6:7]
	s_waitcnt vmcnt(1)
	v_readfirstlane_b32 s10, v10
	v_readfirstlane_b32 s11, v11
	s_and_b64 s[10:11], s[8:9], s[10:11]
	s_mul_i32 s12, s11, 24
	s_mul_hi_u32 s13, s10, 24
	s_mul_i32 s14, s10, 24
	s_add_i32 s13, s13, s12
	s_waitcnt vmcnt(0)
	v_add_co_u32 v10, vcc_lo, v2, s14
	v_add_co_ci_u32_e32 v11, vcc_lo, s13, v3, vcc_lo
	s_and_saveexec_b32 s12, s4
	s_cbranch_execz .LBB0_8
; %bb.7:
	v_mov_b32_e32 v6, s5
	v_mov_b32_e32 v8, 2
	;; [unrolled: 1-line block ×3, first 2 shown]
	global_store_dwordx4 v[10:11], v[6:9], off offset:8
.LBB0_8:
	s_or_b32 exec_lo, exec_lo, s12
	s_lshl_b64 s[10:11], s[10:11], 12
	v_lshlrev_b32_e32 v32, 6, v33
	v_add_co_u32 v4, vcc_lo, v4, s10
	v_add_co_ci_u32_e32 v5, vcc_lo, s11, v5, vcc_lo
	s_mov_b32 s12, 0
	v_add_co_u32 v12, vcc_lo, v4, v32
	s_mov_b32 s15, s12
	s_mov_b32 s13, s12
	;; [unrolled: 1-line block ×3, first 2 shown]
	v_mov_b32_e32 v6, 33
	v_mov_b32_e32 v8, v7
	;; [unrolled: 1-line block ×3, first 2 shown]
	v_readfirstlane_b32 s10, v4
	v_readfirstlane_b32 s11, v5
	v_mov_b32_e32 v17, s15
	v_add_co_ci_u32_e32 v13, vcc_lo, 0, v5, vcc_lo
	v_mov_b32_e32 v16, s14
	v_mov_b32_e32 v15, s13
	;; [unrolled: 1-line block ×3, first 2 shown]
	global_store_dwordx4 v32, v[6:9], s[10:11]
	global_store_dwordx4 v32, v[14:17], s[10:11] offset:16
	global_store_dwordx4 v32, v[14:17], s[10:11] offset:32
	;; [unrolled: 1-line block ×3, first 2 shown]
	s_and_saveexec_b32 s5, s4
	s_cbranch_execz .LBB0_16
; %bb.9:
	v_mov_b32_e32 v8, 0
	v_mov_b32_e32 v14, s8
	;; [unrolled: 1-line block ×3, first 2 shown]
	s_mov_b32 s10, exec_lo
	s_clause 0x1
	global_load_dwordx2 v[16:17], v8, s[6:7] offset:32 glc dlc
	global_load_dwordx2 v[4:5], v8, s[6:7] offset:40
	s_waitcnt vmcnt(0)
	v_and_b32_e32 v5, s9, v5
	v_and_b32_e32 v4, s8, v4
	v_mul_lo_u32 v5, v5, 24
	v_mul_hi_u32 v6, v4, 24
	v_mul_lo_u32 v4, v4, 24
	v_add_nc_u32_e32 v5, v6, v5
	v_add_co_u32 v6, vcc_lo, v2, v4
	v_add_co_ci_u32_e32 v7, vcc_lo, v3, v5, vcc_lo
	global_store_dwordx2 v[6:7], v[16:17], off
	s_waitcnt_vscnt null, 0x0
	global_atomic_cmpswap_x2 v[4:5], v8, v[14:17], s[6:7] offset:32 glc
	s_waitcnt vmcnt(0)
	v_cmpx_ne_u64_e64 v[4:5], v[16:17]
	s_cbranch_execz .LBB0_12
; %bb.10:
	s_mov_b32 s11, 0
.LBB0_11:                               ; =>This Inner Loop Header: Depth=1
	v_mov_b32_e32 v2, s8
	v_mov_b32_e32 v3, s9
	s_sleep 1
	global_store_dwordx2 v[6:7], v[4:5], off
	s_waitcnt_vscnt null, 0x0
	global_atomic_cmpswap_x2 v[2:3], v8, v[2:5], s[6:7] offset:32 glc
	s_waitcnt vmcnt(0)
	v_cmp_eq_u64_e32 vcc_lo, v[2:3], v[4:5]
	v_mov_b32_e32 v5, v3
	v_mov_b32_e32 v4, v2
	s_or_b32 s11, vcc_lo, s11
	s_andn2_b32 exec_lo, exec_lo, s11
	s_cbranch_execnz .LBB0_11
.LBB0_12:
	s_or_b32 exec_lo, exec_lo, s10
	v_mov_b32_e32 v5, 0
	s_mov_b32 s11, exec_lo
	s_mov_b32 s10, exec_lo
	v_mbcnt_lo_u32_b32 v4, s11, 0
	global_load_dwordx2 v[2:3], v5, s[6:7] offset:16
	v_cmpx_eq_u32_e32 0, v4
	s_cbranch_execz .LBB0_14
; %bb.13:
	s_bcnt1_i32_b32 s11, s11
	v_mov_b32_e32 v4, s11
	s_waitcnt vmcnt(0)
	global_atomic_add_x2 v[2:3], v[4:5], off offset:8
.LBB0_14:
	s_or_b32 exec_lo, exec_lo, s10
	s_waitcnt vmcnt(0)
	global_load_dwordx2 v[4:5], v[2:3], off offset:16
	s_waitcnt vmcnt(0)
	v_cmp_eq_u64_e32 vcc_lo, 0, v[4:5]
	s_cbranch_vccnz .LBB0_16
; %bb.15:
	global_load_dword v2, v[2:3], off offset:24
	v_mov_b32_e32 v3, 0
	s_waitcnt vmcnt(0)
	v_and_b32_e32 v6, 0x7fffff, v2
	s_waitcnt_vscnt null, 0x0
	global_store_dwordx2 v[4:5], v[2:3], off
	v_readfirstlane_b32 m0, v6
	s_sendmsg sendmsg(MSG_INTERRUPT)
.LBB0_16:
	s_or_b32 exec_lo, exec_lo, s5
	s_branch .LBB0_20
	.p2align	6
.LBB0_17:                               ;   in Loop: Header=BB0_20 Depth=1
	s_or_b32 exec_lo, exec_lo, s5
	v_readfirstlane_b32 s5, v2
	s_cmp_eq_u32 s5, 0
	s_cbranch_scc1 .LBB0_19
; %bb.18:                               ;   in Loop: Header=BB0_20 Depth=1
	s_sleep 1
	s_cbranch_execnz .LBB0_20
	s_branch .LBB0_22
	.p2align	6
.LBB0_19:
	s_branch .LBB0_22
.LBB0_20:                               ; =>This Inner Loop Header: Depth=1
	v_mov_b32_e32 v2, 1
	s_and_saveexec_b32 s5, s4
	s_cbranch_execz .LBB0_17
; %bb.21:                               ;   in Loop: Header=BB0_20 Depth=1
	global_load_dword v2, v[10:11], off offset:20 glc dlc
	s_waitcnt vmcnt(0)
	buffer_gl1_inv
	buffer_gl0_inv
	v_and_b32_e32 v2, 1, v2
	s_branch .LBB0_17
.LBB0_22:
	global_load_dwordx2 v[6:7], v[12:13], off
	s_and_saveexec_b32 s5, s4
	s_cbranch_execz .LBB0_26
; %bb.23:
	v_mov_b32_e32 v10, 0
	s_clause 0x2
	global_load_dwordx2 v[4:5], v10, s[6:7] offset:40
	global_load_dwordx2 v[11:12], v10, s[6:7] offset:24 glc dlc
	global_load_dwordx2 v[8:9], v10, s[6:7]
	s_waitcnt vmcnt(2)
	v_add_co_u32 v13, vcc_lo, v4, 1
	v_add_co_ci_u32_e32 v14, vcc_lo, 0, v5, vcc_lo
	v_add_co_u32 v2, vcc_lo, v13, s8
	v_add_co_ci_u32_e32 v3, vcc_lo, s9, v14, vcc_lo
	v_cmp_eq_u64_e32 vcc_lo, 0, v[2:3]
	v_cndmask_b32_e32 v3, v3, v14, vcc_lo
	v_cndmask_b32_e32 v2, v2, v13, vcc_lo
	v_and_b32_e32 v5, v3, v5
	v_and_b32_e32 v4, v2, v4
	v_mul_lo_u32 v5, v5, 24
	v_mul_hi_u32 v13, v4, 24
	v_mul_lo_u32 v4, v4, 24
	v_add_nc_u32_e32 v5, v13, v5
	s_waitcnt vmcnt(0)
	v_add_co_u32 v8, vcc_lo, v8, v4
	v_mov_b32_e32 v4, v11
	v_add_co_ci_u32_e32 v9, vcc_lo, v9, v5, vcc_lo
	v_mov_b32_e32 v5, v12
	global_store_dwordx2 v[8:9], v[11:12], off
	s_waitcnt_vscnt null, 0x0
	global_atomic_cmpswap_x2 v[4:5], v10, v[2:5], s[6:7] offset:24 glc
	s_waitcnt vmcnt(0)
	v_cmp_ne_u64_e32 vcc_lo, v[4:5], v[11:12]
	s_and_b32 exec_lo, exec_lo, vcc_lo
	s_cbranch_execz .LBB0_26
; %bb.24:
	s_mov_b32 s4, 0
.LBB0_25:                               ; =>This Inner Loop Header: Depth=1
	s_sleep 1
	global_store_dwordx2 v[8:9], v[4:5], off
	s_waitcnt_vscnt null, 0x0
	global_atomic_cmpswap_x2 v[11:12], v10, v[2:5], s[6:7] offset:24 glc
	s_waitcnt vmcnt(0)
	v_cmp_eq_u64_e32 vcc_lo, v[11:12], v[4:5]
	v_mov_b32_e32 v4, v11
	v_mov_b32_e32 v5, v12
	s_or_b32 s4, vcc_lo, s4
	s_andn2_b32 exec_lo, exec_lo, s4
	s_cbranch_execnz .LBB0_25
.LBB0_26:
	s_or_b32 exec_lo, exec_lo, s5
	s_getpc_b64 s[8:9]
	s_add_u32 s8, s8, .str.8@rel32@lo+4
	s_addc_u32 s9, s9, .str.8@rel32@hi+12
	s_cmp_lg_u64 s[8:9], 0
	s_cbranch_scc0 .LBB0_105
; %bb.27:
	s_waitcnt vmcnt(0)
	v_and_b32_e32 v30, 2, v6
	v_mov_b32_e32 v9, 0
	v_and_b32_e32 v2, -3, v6
	v_mov_b32_e32 v3, v7
	v_mov_b32_e32 v10, 2
	;; [unrolled: 1-line block ×3, first 2 shown]
	s_mov_b64 s[10:11], 3
	s_branch .LBB0_29
.LBB0_28:                               ;   in Loop: Header=BB0_29 Depth=1
	s_or_b32 exec_lo, exec_lo, s5
	s_sub_u32 s10, s10, s12
	s_subb_u32 s11, s11, s13
	s_add_u32 s8, s8, s12
	s_addc_u32 s9, s9, s13
	s_cmp_lg_u64 s[10:11], 0
	s_cbranch_scc0 .LBB0_104
.LBB0_29:                               ; =>This Loop Header: Depth=1
                                        ;     Child Loop BB0_38 Depth 2
                                        ;     Child Loop BB0_34 Depth 2
	;; [unrolled: 1-line block ×11, first 2 shown]
	v_cmp_lt_u64_e64 s4, s[10:11], 56
	v_cmp_gt_u64_e64 s5, s[10:11], 7
                                        ; implicit-def: $vgpr4_vgpr5
                                        ; implicit-def: $sgpr18
	s_and_b32 s4, s4, exec_lo
	s_cselect_b32 s13, s11, 0
	s_cselect_b32 s12, s10, 56
	s_and_b32 vcc_lo, exec_lo, s5
	s_mov_b32 s4, -1
	s_cbranch_vccz .LBB0_36
; %bb.30:                               ;   in Loop: Header=BB0_29 Depth=1
	s_andn2_b32 vcc_lo, exec_lo, s4
	s_mov_b64 s[4:5], s[8:9]
	s_cbranch_vccz .LBB0_40
.LBB0_31:                               ;   in Loop: Header=BB0_29 Depth=1
	s_cmp_gt_u32 s18, 7
	s_cbranch_scc1 .LBB0_41
.LBB0_32:                               ;   in Loop: Header=BB0_29 Depth=1
	v_mov_b32_e32 v12, 0
	v_mov_b32_e32 v13, 0
	s_cmp_eq_u32 s18, 0
	s_cbranch_scc1 .LBB0_35
; %bb.33:                               ;   in Loop: Header=BB0_29 Depth=1
	s_mov_b64 s[14:15], 0
	s_mov_b64 s[16:17], 0
.LBB0_34:                               ;   Parent Loop BB0_29 Depth=1
                                        ; =>  This Inner Loop Header: Depth=2
	s_add_u32 s20, s4, s16
	s_addc_u32 s21, s5, s17
	s_add_u32 s16, s16, 1
	global_load_ubyte v8, v9, s[20:21]
	s_addc_u32 s17, s17, 0
	s_waitcnt vmcnt(0)
	v_and_b32_e32 v8, 0xffff, v8
	v_lshlrev_b64 v[14:15], s14, v[8:9]
	s_add_u32 s14, s14, 8
	s_addc_u32 s15, s15, 0
	s_cmp_lg_u32 s18, s16
	v_or_b32_e32 v12, v14, v12
	v_or_b32_e32 v13, v15, v13
	s_cbranch_scc1 .LBB0_34
.LBB0_35:                               ;   in Loop: Header=BB0_29 Depth=1
	s_mov_b32 s19, 0
	s_cbranch_execz .LBB0_42
	s_branch .LBB0_43
.LBB0_36:                               ;   in Loop: Header=BB0_29 Depth=1
	s_waitcnt vmcnt(0)
	v_mov_b32_e32 v4, 0
	v_mov_b32_e32 v5, 0
	s_cmp_eq_u64 s[10:11], 0
	s_mov_b64 s[4:5], 0
	s_cbranch_scc1 .LBB0_39
; %bb.37:                               ;   in Loop: Header=BB0_29 Depth=1
	v_mov_b32_e32 v4, 0
	v_mov_b32_e32 v5, 0
	s_lshl_b64 s[14:15], s[12:13], 3
	s_mov_b64 s[16:17], s[8:9]
.LBB0_38:                               ;   Parent Loop BB0_29 Depth=1
                                        ; =>  This Inner Loop Header: Depth=2
	global_load_ubyte v8, v9, s[16:17]
	s_waitcnt vmcnt(0)
	v_and_b32_e32 v8, 0xffff, v8
	v_lshlrev_b64 v[12:13], s4, v[8:9]
	s_add_u32 s4, s4, 8
	s_addc_u32 s5, s5, 0
	s_add_u32 s16, s16, 1
	s_addc_u32 s17, s17, 0
	s_cmp_lg_u32 s14, s4
	v_or_b32_e32 v4, v12, v4
	v_or_b32_e32 v5, v13, v5
	s_cbranch_scc1 .LBB0_38
.LBB0_39:                               ;   in Loop: Header=BB0_29 Depth=1
	s_mov_b32 s18, 0
	s_mov_b64 s[4:5], s[8:9]
	s_cbranch_execnz .LBB0_31
.LBB0_40:                               ;   in Loop: Header=BB0_29 Depth=1
	global_load_dwordx2 v[4:5], v9, s[8:9]
	s_add_i32 s18, s12, -8
	s_add_u32 s4, s8, 8
	s_addc_u32 s5, s9, 0
	s_cmp_gt_u32 s18, 7
	s_cbranch_scc0 .LBB0_32
.LBB0_41:                               ;   in Loop: Header=BB0_29 Depth=1
                                        ; implicit-def: $vgpr12_vgpr13
                                        ; implicit-def: $sgpr19
.LBB0_42:                               ;   in Loop: Header=BB0_29 Depth=1
	global_load_dwordx2 v[12:13], v9, s[4:5]
	s_add_i32 s19, s18, -8
	s_add_u32 s4, s4, 8
	s_addc_u32 s5, s5, 0
.LBB0_43:                               ;   in Loop: Header=BB0_29 Depth=1
	s_cmp_gt_u32 s19, 7
	s_cbranch_scc1 .LBB0_48
; %bb.44:                               ;   in Loop: Header=BB0_29 Depth=1
	v_mov_b32_e32 v14, 0
	v_mov_b32_e32 v15, 0
	s_cmp_eq_u32 s19, 0
	s_cbranch_scc1 .LBB0_47
; %bb.45:                               ;   in Loop: Header=BB0_29 Depth=1
	s_mov_b64 s[14:15], 0
	s_mov_b64 s[16:17], 0
.LBB0_46:                               ;   Parent Loop BB0_29 Depth=1
                                        ; =>  This Inner Loop Header: Depth=2
	s_add_u32 s20, s4, s16
	s_addc_u32 s21, s5, s17
	s_add_u32 s16, s16, 1
	global_load_ubyte v8, v9, s[20:21]
	s_addc_u32 s17, s17, 0
	s_waitcnt vmcnt(0)
	v_and_b32_e32 v8, 0xffff, v8
	v_lshlrev_b64 v[16:17], s14, v[8:9]
	s_add_u32 s14, s14, 8
	s_addc_u32 s15, s15, 0
	s_cmp_lg_u32 s19, s16
	v_or_b32_e32 v14, v16, v14
	v_or_b32_e32 v15, v17, v15
	s_cbranch_scc1 .LBB0_46
.LBB0_47:                               ;   in Loop: Header=BB0_29 Depth=1
	s_mov_b32 s18, 0
	s_cbranch_execz .LBB0_49
	s_branch .LBB0_50
.LBB0_48:                               ;   in Loop: Header=BB0_29 Depth=1
                                        ; implicit-def: $sgpr18
.LBB0_49:                               ;   in Loop: Header=BB0_29 Depth=1
	global_load_dwordx2 v[14:15], v9, s[4:5]
	s_add_i32 s18, s19, -8
	s_add_u32 s4, s4, 8
	s_addc_u32 s5, s5, 0
.LBB0_50:                               ;   in Loop: Header=BB0_29 Depth=1
	s_cmp_gt_u32 s18, 7
	s_cbranch_scc1 .LBB0_55
; %bb.51:                               ;   in Loop: Header=BB0_29 Depth=1
	v_mov_b32_e32 v16, 0
	v_mov_b32_e32 v17, 0
	s_cmp_eq_u32 s18, 0
	s_cbranch_scc1 .LBB0_54
; %bb.52:                               ;   in Loop: Header=BB0_29 Depth=1
	s_mov_b64 s[14:15], 0
	s_mov_b64 s[16:17], 0
.LBB0_53:                               ;   Parent Loop BB0_29 Depth=1
                                        ; =>  This Inner Loop Header: Depth=2
	s_add_u32 s20, s4, s16
	s_addc_u32 s21, s5, s17
	s_add_u32 s16, s16, 1
	global_load_ubyte v8, v9, s[20:21]
	s_addc_u32 s17, s17, 0
	s_waitcnt vmcnt(0)
	v_and_b32_e32 v8, 0xffff, v8
	v_lshlrev_b64 v[18:19], s14, v[8:9]
	s_add_u32 s14, s14, 8
	s_addc_u32 s15, s15, 0
	s_cmp_lg_u32 s18, s16
	v_or_b32_e32 v16, v18, v16
	v_or_b32_e32 v17, v19, v17
	s_cbranch_scc1 .LBB0_53
.LBB0_54:                               ;   in Loop: Header=BB0_29 Depth=1
	s_mov_b32 s19, 0
	s_cbranch_execz .LBB0_56
	s_branch .LBB0_57
.LBB0_55:                               ;   in Loop: Header=BB0_29 Depth=1
                                        ; implicit-def: $vgpr16_vgpr17
                                        ; implicit-def: $sgpr19
.LBB0_56:                               ;   in Loop: Header=BB0_29 Depth=1
	global_load_dwordx2 v[16:17], v9, s[4:5]
	s_add_i32 s19, s18, -8
	s_add_u32 s4, s4, 8
	s_addc_u32 s5, s5, 0
.LBB0_57:                               ;   in Loop: Header=BB0_29 Depth=1
	s_cmp_gt_u32 s19, 7
	s_cbranch_scc1 .LBB0_62
; %bb.58:                               ;   in Loop: Header=BB0_29 Depth=1
	v_mov_b32_e32 v18, 0
	v_mov_b32_e32 v19, 0
	s_cmp_eq_u32 s19, 0
	s_cbranch_scc1 .LBB0_61
; %bb.59:                               ;   in Loop: Header=BB0_29 Depth=1
	s_mov_b64 s[14:15], 0
	s_mov_b64 s[16:17], 0
.LBB0_60:                               ;   Parent Loop BB0_29 Depth=1
                                        ; =>  This Inner Loop Header: Depth=2
	s_add_u32 s20, s4, s16
	s_addc_u32 s21, s5, s17
	s_add_u32 s16, s16, 1
	global_load_ubyte v8, v9, s[20:21]
	s_addc_u32 s17, s17, 0
	s_waitcnt vmcnt(0)
	v_and_b32_e32 v8, 0xffff, v8
	v_lshlrev_b64 v[20:21], s14, v[8:9]
	s_add_u32 s14, s14, 8
	s_addc_u32 s15, s15, 0
	s_cmp_lg_u32 s19, s16
	v_or_b32_e32 v18, v20, v18
	v_or_b32_e32 v19, v21, v19
	s_cbranch_scc1 .LBB0_60
.LBB0_61:                               ;   in Loop: Header=BB0_29 Depth=1
	s_mov_b32 s18, 0
	s_cbranch_execz .LBB0_63
	s_branch .LBB0_64
.LBB0_62:                               ;   in Loop: Header=BB0_29 Depth=1
                                        ; implicit-def: $sgpr18
.LBB0_63:                               ;   in Loop: Header=BB0_29 Depth=1
	global_load_dwordx2 v[18:19], v9, s[4:5]
	s_add_i32 s18, s19, -8
	s_add_u32 s4, s4, 8
	s_addc_u32 s5, s5, 0
.LBB0_64:                               ;   in Loop: Header=BB0_29 Depth=1
	s_cmp_gt_u32 s18, 7
	s_cbranch_scc1 .LBB0_69
; %bb.65:                               ;   in Loop: Header=BB0_29 Depth=1
	v_mov_b32_e32 v20, 0
	v_mov_b32_e32 v21, 0
	s_cmp_eq_u32 s18, 0
	s_cbranch_scc1 .LBB0_68
; %bb.66:                               ;   in Loop: Header=BB0_29 Depth=1
	s_mov_b64 s[14:15], 0
	s_mov_b64 s[16:17], 0
.LBB0_67:                               ;   Parent Loop BB0_29 Depth=1
                                        ; =>  This Inner Loop Header: Depth=2
	s_add_u32 s20, s4, s16
	s_addc_u32 s21, s5, s17
	s_add_u32 s16, s16, 1
	global_load_ubyte v8, v9, s[20:21]
	s_addc_u32 s17, s17, 0
	s_waitcnt vmcnt(0)
	v_and_b32_e32 v8, 0xffff, v8
	v_lshlrev_b64 v[22:23], s14, v[8:9]
	s_add_u32 s14, s14, 8
	s_addc_u32 s15, s15, 0
	s_cmp_lg_u32 s18, s16
	v_or_b32_e32 v20, v22, v20
	v_or_b32_e32 v21, v23, v21
	s_cbranch_scc1 .LBB0_67
.LBB0_68:                               ;   in Loop: Header=BB0_29 Depth=1
	s_mov_b32 s19, 0
	s_cbranch_execz .LBB0_70
	s_branch .LBB0_71
.LBB0_69:                               ;   in Loop: Header=BB0_29 Depth=1
                                        ; implicit-def: $vgpr20_vgpr21
                                        ; implicit-def: $sgpr19
.LBB0_70:                               ;   in Loop: Header=BB0_29 Depth=1
	global_load_dwordx2 v[20:21], v9, s[4:5]
	s_add_i32 s19, s18, -8
	s_add_u32 s4, s4, 8
	s_addc_u32 s5, s5, 0
.LBB0_71:                               ;   in Loop: Header=BB0_29 Depth=1
	s_cmp_gt_u32 s19, 7
	s_cbranch_scc1 .LBB0_76
; %bb.72:                               ;   in Loop: Header=BB0_29 Depth=1
	v_mov_b32_e32 v22, 0
	v_mov_b32_e32 v23, 0
	s_cmp_eq_u32 s19, 0
	s_cbranch_scc1 .LBB0_75
; %bb.73:                               ;   in Loop: Header=BB0_29 Depth=1
	s_mov_b64 s[14:15], 0
	s_mov_b64 s[16:17], s[4:5]
.LBB0_74:                               ;   Parent Loop BB0_29 Depth=1
                                        ; =>  This Inner Loop Header: Depth=2
	global_load_ubyte v8, v9, s[16:17]
	s_add_i32 s19, s19, -1
	s_waitcnt vmcnt(0)
	v_and_b32_e32 v8, 0xffff, v8
	v_lshlrev_b64 v[24:25], s14, v[8:9]
	s_add_u32 s14, s14, 8
	s_addc_u32 s15, s15, 0
	s_add_u32 s16, s16, 1
	s_addc_u32 s17, s17, 0
	s_cmp_lg_u32 s19, 0
	v_or_b32_e32 v22, v24, v22
	v_or_b32_e32 v23, v25, v23
	s_cbranch_scc1 .LBB0_74
.LBB0_75:                               ;   in Loop: Header=BB0_29 Depth=1
	s_cbranch_execz .LBB0_77
	s_branch .LBB0_78
.LBB0_76:                               ;   in Loop: Header=BB0_29 Depth=1
.LBB0_77:                               ;   in Loop: Header=BB0_29 Depth=1
	global_load_dwordx2 v[22:23], v9, s[4:5]
.LBB0_78:                               ;   in Loop: Header=BB0_29 Depth=1
	v_readfirstlane_b32 s4, v33
	v_mov_b32_e32 v28, 0
	v_mov_b32_e32 v29, 0
	v_cmp_eq_u32_e64 s4, s4, v33
	s_and_saveexec_b32 s5, s4
	s_cbranch_execz .LBB0_84
; %bb.79:                               ;   in Loop: Header=BB0_29 Depth=1
	global_load_dwordx2 v[26:27], v9, s[6:7] offset:24 glc dlc
	s_waitcnt vmcnt(0)
	buffer_gl1_inv
	buffer_gl0_inv
	s_clause 0x1
	global_load_dwordx2 v[24:25], v9, s[6:7] offset:40
	global_load_dwordx2 v[28:29], v9, s[6:7]
	s_mov_b32 s14, exec_lo
	s_waitcnt vmcnt(1)
	v_and_b32_e32 v8, v25, v27
	v_and_b32_e32 v24, v24, v26
	v_mul_lo_u32 v8, v8, 24
	v_mul_hi_u32 v25, v24, 24
	v_mul_lo_u32 v24, v24, 24
	v_add_nc_u32_e32 v8, v25, v8
	s_waitcnt vmcnt(0)
	v_add_co_u32 v24, vcc_lo, v28, v24
	v_add_co_ci_u32_e32 v25, vcc_lo, v29, v8, vcc_lo
	global_load_dwordx2 v[24:25], v[24:25], off glc dlc
	s_waitcnt vmcnt(0)
	global_atomic_cmpswap_x2 v[28:29], v9, v[24:27], s[6:7] offset:24 glc
	s_waitcnt vmcnt(0)
	buffer_gl1_inv
	buffer_gl0_inv
	v_cmpx_ne_u64_e64 v[28:29], v[26:27]
	s_cbranch_execz .LBB0_83
; %bb.80:                               ;   in Loop: Header=BB0_29 Depth=1
	s_mov_b32 s15, 0
	.p2align	6
.LBB0_81:                               ;   Parent Loop BB0_29 Depth=1
                                        ; =>  This Inner Loop Header: Depth=2
	s_sleep 1
	s_clause 0x1
	global_load_dwordx2 v[24:25], v9, s[6:7] offset:40
	global_load_dwordx2 v[34:35], v9, s[6:7]
	v_mov_b32_e32 v26, v28
	v_mov_b32_e32 v27, v29
	s_waitcnt vmcnt(1)
	v_and_b32_e32 v8, v24, v26
	v_and_b32_e32 v24, v25, v27
	s_waitcnt vmcnt(0)
	v_mad_u64_u32 v[28:29], null, v8, 24, v[34:35]
	v_mov_b32_e32 v8, v29
	v_mad_u64_u32 v[24:25], null, v24, 24, v[8:9]
	v_mov_b32_e32 v29, v24
	global_load_dwordx2 v[24:25], v[28:29], off glc dlc
	s_waitcnt vmcnt(0)
	global_atomic_cmpswap_x2 v[28:29], v9, v[24:27], s[6:7] offset:24 glc
	s_waitcnt vmcnt(0)
	buffer_gl1_inv
	buffer_gl0_inv
	v_cmp_eq_u64_e32 vcc_lo, v[28:29], v[26:27]
	s_or_b32 s15, vcc_lo, s15
	s_andn2_b32 exec_lo, exec_lo, s15
	s_cbranch_execnz .LBB0_81
; %bb.82:                               ;   in Loop: Header=BB0_29 Depth=1
	s_or_b32 exec_lo, exec_lo, s15
.LBB0_83:                               ;   in Loop: Header=BB0_29 Depth=1
	s_or_b32 exec_lo, exec_lo, s14
.LBB0_84:                               ;   in Loop: Header=BB0_29 Depth=1
	s_or_b32 exec_lo, exec_lo, s5
	s_clause 0x1
	global_load_dwordx2 v[34:35], v9, s[6:7] offset:40
	global_load_dwordx4 v[24:27], v9, s[6:7]
	v_readfirstlane_b32 s14, v28
	v_readfirstlane_b32 s15, v29
	s_mov_b32 s5, exec_lo
	s_waitcnt vmcnt(1)
	v_readfirstlane_b32 s16, v34
	v_readfirstlane_b32 s17, v35
	s_and_b64 s[16:17], s[14:15], s[16:17]
	s_mul_i32 s18, s17, 24
	s_mul_hi_u32 s19, s16, 24
	s_mul_i32 s20, s16, 24
	s_add_i32 s19, s19, s18
	s_waitcnt vmcnt(0)
	v_add_co_u32 v28, vcc_lo, v24, s20
	v_add_co_ci_u32_e32 v29, vcc_lo, s19, v25, vcc_lo
	s_and_saveexec_b32 s18, s4
	s_cbranch_execz .LBB0_86
; %bb.85:                               ;   in Loop: Header=BB0_29 Depth=1
	v_mov_b32_e32 v8, s5
	global_store_dwordx4 v[28:29], v[8:11], off offset:8
.LBB0_86:                               ;   in Loop: Header=BB0_29 Depth=1
	s_or_b32 exec_lo, exec_lo, s18
	s_lshl_b64 s[16:17], s[16:17], 12
	v_cmp_gt_u64_e64 vcc_lo, s[10:11], 56
	v_or_b32_e32 v31, v2, v30
	v_add_co_u32 v26, s5, v26, s16
	v_add_co_ci_u32_e64 v27, s5, s17, v27, s5
	s_lshl_b32 s5, s12, 2
	v_or_b32_e32 v8, 0, v3
	v_cndmask_b32_e32 v2, v31, v2, vcc_lo
	s_add_i32 s5, s5, 28
	v_readfirstlane_b32 s16, v26
	s_and_b32 s5, s5, 0x1e0
	v_cndmask_b32_e32 v3, v8, v3, vcc_lo
	v_readfirstlane_b32 s17, v27
	v_and_or_b32 v2, 0xffffff1f, v2, s5
	global_store_dwordx4 v32, v[2:5], s[16:17]
	global_store_dwordx4 v32, v[12:15], s[16:17] offset:16
	global_store_dwordx4 v32, v[16:19], s[16:17] offset:32
	;; [unrolled: 1-line block ×3, first 2 shown]
	s_and_saveexec_b32 s5, s4
	s_cbranch_execz .LBB0_94
; %bb.87:                               ;   in Loop: Header=BB0_29 Depth=1
	s_clause 0x1
	global_load_dwordx2 v[16:17], v9, s[6:7] offset:32 glc dlc
	global_load_dwordx2 v[2:3], v9, s[6:7] offset:40
	v_mov_b32_e32 v14, s14
	v_mov_b32_e32 v15, s15
	s_waitcnt vmcnt(0)
	v_readfirstlane_b32 s16, v2
	v_readfirstlane_b32 s17, v3
	s_and_b64 s[16:17], s[16:17], s[14:15]
	s_mul_i32 s17, s17, 24
	s_mul_hi_u32 s18, s16, 24
	s_mul_i32 s16, s16, 24
	s_add_i32 s18, s18, s17
	v_add_co_u32 v12, vcc_lo, v24, s16
	v_add_co_ci_u32_e32 v13, vcc_lo, s18, v25, vcc_lo
	s_mov_b32 s16, exec_lo
	global_store_dwordx2 v[12:13], v[16:17], off
	s_waitcnt_vscnt null, 0x0
	global_atomic_cmpswap_x2 v[4:5], v9, v[14:17], s[6:7] offset:32 glc
	s_waitcnt vmcnt(0)
	v_cmpx_ne_u64_e64 v[4:5], v[16:17]
	s_cbranch_execz .LBB0_90
; %bb.88:                               ;   in Loop: Header=BB0_29 Depth=1
	s_mov_b32 s17, 0
.LBB0_89:                               ;   Parent Loop BB0_29 Depth=1
                                        ; =>  This Inner Loop Header: Depth=2
	v_mov_b32_e32 v2, s14
	v_mov_b32_e32 v3, s15
	s_sleep 1
	global_store_dwordx2 v[12:13], v[4:5], off
	s_waitcnt_vscnt null, 0x0
	global_atomic_cmpswap_x2 v[2:3], v9, v[2:5], s[6:7] offset:32 glc
	s_waitcnt vmcnt(0)
	v_cmp_eq_u64_e32 vcc_lo, v[2:3], v[4:5]
	v_mov_b32_e32 v5, v3
	v_mov_b32_e32 v4, v2
	s_or_b32 s17, vcc_lo, s17
	s_andn2_b32 exec_lo, exec_lo, s17
	s_cbranch_execnz .LBB0_89
.LBB0_90:                               ;   in Loop: Header=BB0_29 Depth=1
	s_or_b32 exec_lo, exec_lo, s16
	global_load_dwordx2 v[2:3], v9, s[6:7] offset:16
	s_mov_b32 s17, exec_lo
	s_mov_b32 s16, exec_lo
	v_mbcnt_lo_u32_b32 v4, s17, 0
	v_cmpx_eq_u32_e32 0, v4
	s_cbranch_execz .LBB0_92
; %bb.91:                               ;   in Loop: Header=BB0_29 Depth=1
	s_bcnt1_i32_b32 s17, s17
	v_mov_b32_e32 v8, s17
	s_waitcnt vmcnt(0)
	global_atomic_add_x2 v[2:3], v[8:9], off offset:8
.LBB0_92:                               ;   in Loop: Header=BB0_29 Depth=1
	s_or_b32 exec_lo, exec_lo, s16
	s_waitcnt vmcnt(0)
	global_load_dwordx2 v[4:5], v[2:3], off offset:16
	s_waitcnt vmcnt(0)
	v_cmp_eq_u64_e32 vcc_lo, 0, v[4:5]
	s_cbranch_vccnz .LBB0_94
; %bb.93:                               ;   in Loop: Header=BB0_29 Depth=1
	global_load_dword v8, v[2:3], off offset:24
	s_waitcnt vmcnt(0)
	v_and_b32_e32 v2, 0x7fffff, v8
	s_waitcnt_vscnt null, 0x0
	global_store_dwordx2 v[4:5], v[8:9], off
	v_readfirstlane_b32 m0, v2
	s_sendmsg sendmsg(MSG_INTERRUPT)
.LBB0_94:                               ;   in Loop: Header=BB0_29 Depth=1
	s_or_b32 exec_lo, exec_lo, s5
	v_add_co_u32 v2, vcc_lo, v26, v32
	v_add_co_ci_u32_e32 v3, vcc_lo, 0, v27, vcc_lo
	s_branch .LBB0_98
	.p2align	6
.LBB0_95:                               ;   in Loop: Header=BB0_98 Depth=2
	s_or_b32 exec_lo, exec_lo, s5
	v_readfirstlane_b32 s5, v4
	s_cmp_eq_u32 s5, 0
	s_cbranch_scc1 .LBB0_97
; %bb.96:                               ;   in Loop: Header=BB0_98 Depth=2
	s_sleep 1
	s_cbranch_execnz .LBB0_98
	s_branch .LBB0_100
	.p2align	6
.LBB0_97:                               ;   in Loop: Header=BB0_29 Depth=1
	s_branch .LBB0_100
.LBB0_98:                               ;   Parent Loop BB0_29 Depth=1
                                        ; =>  This Inner Loop Header: Depth=2
	v_mov_b32_e32 v4, 1
	s_and_saveexec_b32 s5, s4
	s_cbranch_execz .LBB0_95
; %bb.99:                               ;   in Loop: Header=BB0_98 Depth=2
	global_load_dword v4, v[28:29], off offset:20 glc dlc
	s_waitcnt vmcnt(0)
	buffer_gl1_inv
	buffer_gl0_inv
	v_and_b32_e32 v4, 1, v4
	s_branch .LBB0_95
.LBB0_100:                              ;   in Loop: Header=BB0_29 Depth=1
	global_load_dwordx4 v[2:5], v[2:3], off
	s_and_saveexec_b32 s5, s4
	s_cbranch_execz .LBB0_28
; %bb.101:                              ;   in Loop: Header=BB0_29 Depth=1
	s_clause 0x2
	global_load_dwordx2 v[4:5], v9, s[6:7] offset:40
	global_load_dwordx2 v[16:17], v9, s[6:7] offset:24 glc dlc
	global_load_dwordx2 v[14:15], v9, s[6:7]
	s_waitcnt vmcnt(2)
	v_add_co_u32 v8, vcc_lo, v4, 1
	v_add_co_ci_u32_e32 v18, vcc_lo, 0, v5, vcc_lo
	v_add_co_u32 v12, vcc_lo, v8, s14
	v_add_co_ci_u32_e32 v13, vcc_lo, s15, v18, vcc_lo
	v_cmp_eq_u64_e32 vcc_lo, 0, v[12:13]
	v_cndmask_b32_e32 v13, v13, v18, vcc_lo
	v_cndmask_b32_e32 v12, v12, v8, vcc_lo
	v_and_b32_e32 v5, v13, v5
	v_and_b32_e32 v4, v12, v4
	v_mul_lo_u32 v5, v5, 24
	v_mul_hi_u32 v8, v4, 24
	v_mul_lo_u32 v4, v4, 24
	v_add_nc_u32_e32 v5, v8, v5
	s_waitcnt vmcnt(0)
	v_add_co_u32 v4, vcc_lo, v14, v4
	v_mov_b32_e32 v14, v16
	v_add_co_ci_u32_e32 v5, vcc_lo, v15, v5, vcc_lo
	v_mov_b32_e32 v15, v17
	global_store_dwordx2 v[4:5], v[16:17], off
	s_waitcnt_vscnt null, 0x0
	global_atomic_cmpswap_x2 v[14:15], v9, v[12:15], s[6:7] offset:24 glc
	s_waitcnt vmcnt(0)
	v_cmp_ne_u64_e32 vcc_lo, v[14:15], v[16:17]
	s_and_b32 exec_lo, exec_lo, vcc_lo
	s_cbranch_execz .LBB0_28
; %bb.102:                              ;   in Loop: Header=BB0_29 Depth=1
	s_mov_b32 s4, 0
.LBB0_103:                              ;   Parent Loop BB0_29 Depth=1
                                        ; =>  This Inner Loop Header: Depth=2
	s_sleep 1
	global_store_dwordx2 v[4:5], v[14:15], off
	s_waitcnt_vscnt null, 0x0
	global_atomic_cmpswap_x2 v[16:17], v9, v[12:15], s[6:7] offset:24 glc
	s_waitcnt vmcnt(0)
	v_cmp_eq_u64_e32 vcc_lo, v[16:17], v[14:15]
	v_mov_b32_e32 v14, v16
	v_mov_b32_e32 v15, v17
	s_or_b32 s4, vcc_lo, s4
	s_andn2_b32 exec_lo, exec_lo, s4
	s_cbranch_execnz .LBB0_103
	s_branch .LBB0_28
.LBB0_104:
	s_branch .LBB0_133
.LBB0_105:
                                        ; implicit-def: $vgpr2_vgpr3
	s_cbranch_execz .LBB0_133
; %bb.106:
	v_readfirstlane_b32 s4, v33
	v_mov_b32_e32 v9, 0
	v_mov_b32_e32 v10, 0
	v_cmp_eq_u32_e64 s4, s4, v33
	s_and_saveexec_b32 s5, s4
	s_cbranch_execz .LBB0_112
; %bb.107:
	s_waitcnt vmcnt(0)
	v_mov_b32_e32 v2, 0
	s_mov_b32 s8, exec_lo
	global_load_dwordx2 v[11:12], v2, s[6:7] offset:24 glc dlc
	s_waitcnt vmcnt(0)
	buffer_gl1_inv
	buffer_gl0_inv
	s_clause 0x1
	global_load_dwordx2 v[3:4], v2, s[6:7] offset:40
	global_load_dwordx2 v[8:9], v2, s[6:7]
	s_waitcnt vmcnt(1)
	v_and_b32_e32 v4, v4, v12
	v_and_b32_e32 v3, v3, v11
	v_mul_lo_u32 v4, v4, 24
	v_mul_hi_u32 v5, v3, 24
	v_mul_lo_u32 v3, v3, 24
	v_add_nc_u32_e32 v4, v5, v4
	s_waitcnt vmcnt(0)
	v_add_co_u32 v3, vcc_lo, v8, v3
	v_add_co_ci_u32_e32 v4, vcc_lo, v9, v4, vcc_lo
	global_load_dwordx2 v[9:10], v[3:4], off glc dlc
	s_waitcnt vmcnt(0)
	global_atomic_cmpswap_x2 v[9:10], v2, v[9:12], s[6:7] offset:24 glc
	s_waitcnt vmcnt(0)
	buffer_gl1_inv
	buffer_gl0_inv
	v_cmpx_ne_u64_e64 v[9:10], v[11:12]
	s_cbranch_execz .LBB0_111
; %bb.108:
	s_mov_b32 s9, 0
	.p2align	6
.LBB0_109:                              ; =>This Inner Loop Header: Depth=1
	s_sleep 1
	s_clause 0x1
	global_load_dwordx2 v[3:4], v2, s[6:7] offset:40
	global_load_dwordx2 v[13:14], v2, s[6:7]
	v_mov_b32_e32 v12, v10
	v_mov_b32_e32 v11, v9
	s_waitcnt vmcnt(1)
	v_and_b32_e32 v3, v3, v11
	v_and_b32_e32 v4, v4, v12
	s_waitcnt vmcnt(0)
	v_mad_u64_u32 v[8:9], null, v3, 24, v[13:14]
	v_mov_b32_e32 v3, v9
	v_mad_u64_u32 v[3:4], null, v4, 24, v[3:4]
	v_mov_b32_e32 v9, v3
	global_load_dwordx2 v[9:10], v[8:9], off glc dlc
	s_waitcnt vmcnt(0)
	global_atomic_cmpswap_x2 v[9:10], v2, v[9:12], s[6:7] offset:24 glc
	s_waitcnt vmcnt(0)
	buffer_gl1_inv
	buffer_gl0_inv
	v_cmp_eq_u64_e32 vcc_lo, v[9:10], v[11:12]
	s_or_b32 s9, vcc_lo, s9
	s_andn2_b32 exec_lo, exec_lo, s9
	s_cbranch_execnz .LBB0_109
; %bb.110:
	s_or_b32 exec_lo, exec_lo, s9
.LBB0_111:
	s_or_b32 exec_lo, exec_lo, s8
.LBB0_112:
	s_or_b32 exec_lo, exec_lo, s5
	v_mov_b32_e32 v8, 0
	v_readfirstlane_b32 s8, v9
	v_readfirstlane_b32 s9, v10
	s_mov_b32 s5, exec_lo
	s_clause 0x1
	global_load_dwordx2 v[11:12], v8, s[6:7] offset:40
	global_load_dwordx4 v[2:5], v8, s[6:7]
	s_waitcnt vmcnt(1)
	v_readfirstlane_b32 s10, v11
	v_readfirstlane_b32 s11, v12
	s_and_b64 s[10:11], s[8:9], s[10:11]
	s_mul_i32 s12, s11, 24
	s_mul_hi_u32 s13, s10, 24
	s_mul_i32 s14, s10, 24
	s_add_i32 s13, s13, s12
	s_waitcnt vmcnt(0)
	v_add_co_u32 v10, vcc_lo, v2, s14
	v_add_co_ci_u32_e32 v11, vcc_lo, s13, v3, vcc_lo
	s_and_saveexec_b32 s12, s4
	s_cbranch_execz .LBB0_114
; %bb.113:
	v_mov_b32_e32 v12, s5
	v_mov_b32_e32 v13, v8
	;; [unrolled: 1-line block ×4, first 2 shown]
	global_store_dwordx4 v[10:11], v[12:15], off offset:8
.LBB0_114:
	s_or_b32 exec_lo, exec_lo, s12
	s_lshl_b64 s[10:11], s[10:11], 12
	s_mov_b32 s12, 0
	v_add_co_u32 v4, vcc_lo, v4, s10
	v_add_co_ci_u32_e32 v5, vcc_lo, s11, v5, vcc_lo
	s_mov_b32 s15, s12
	v_add_co_u32 v12, vcc_lo, v4, v32
	s_mov_b32 s13, s12
	s_mov_b32 s14, s12
	v_and_or_b32 v6, 0xffffff1f, v6, 32
	v_mov_b32_e32 v9, v8
	v_readfirstlane_b32 s10, v4
	v_readfirstlane_b32 s11, v5
	v_mov_b32_e32 v17, s15
	v_add_co_ci_u32_e32 v13, vcc_lo, 0, v5, vcc_lo
	v_mov_b32_e32 v16, s14
	v_mov_b32_e32 v15, s13
	;; [unrolled: 1-line block ×3, first 2 shown]
	global_store_dwordx4 v32, v[6:9], s[10:11]
	global_store_dwordx4 v32, v[14:17], s[10:11] offset:16
	global_store_dwordx4 v32, v[14:17], s[10:11] offset:32
	;; [unrolled: 1-line block ×3, first 2 shown]
	s_and_saveexec_b32 s5, s4
	s_cbranch_execz .LBB0_122
; %bb.115:
	v_mov_b32_e32 v8, 0
	v_mov_b32_e32 v14, s8
	;; [unrolled: 1-line block ×3, first 2 shown]
	s_clause 0x1
	global_load_dwordx2 v[16:17], v8, s[6:7] offset:32 glc dlc
	global_load_dwordx2 v[4:5], v8, s[6:7] offset:40
	s_waitcnt vmcnt(0)
	v_readfirstlane_b32 s10, v4
	v_readfirstlane_b32 s11, v5
	s_and_b64 s[10:11], s[10:11], s[8:9]
	s_mul_i32 s11, s11, 24
	s_mul_hi_u32 s12, s10, 24
	s_mul_i32 s10, s10, 24
	s_add_i32 s12, s12, s11
	v_add_co_u32 v6, vcc_lo, v2, s10
	v_add_co_ci_u32_e32 v7, vcc_lo, s12, v3, vcc_lo
	s_mov_b32 s10, exec_lo
	global_store_dwordx2 v[6:7], v[16:17], off
	s_waitcnt_vscnt null, 0x0
	global_atomic_cmpswap_x2 v[4:5], v8, v[14:17], s[6:7] offset:32 glc
	s_waitcnt vmcnt(0)
	v_cmpx_ne_u64_e64 v[4:5], v[16:17]
	s_cbranch_execz .LBB0_118
; %bb.116:
	s_mov_b32 s11, 0
.LBB0_117:                              ; =>This Inner Loop Header: Depth=1
	v_mov_b32_e32 v2, s8
	v_mov_b32_e32 v3, s9
	s_sleep 1
	global_store_dwordx2 v[6:7], v[4:5], off
	s_waitcnt_vscnt null, 0x0
	global_atomic_cmpswap_x2 v[2:3], v8, v[2:5], s[6:7] offset:32 glc
	s_waitcnt vmcnt(0)
	v_cmp_eq_u64_e32 vcc_lo, v[2:3], v[4:5]
	v_mov_b32_e32 v5, v3
	v_mov_b32_e32 v4, v2
	s_or_b32 s11, vcc_lo, s11
	s_andn2_b32 exec_lo, exec_lo, s11
	s_cbranch_execnz .LBB0_117
.LBB0_118:
	s_or_b32 exec_lo, exec_lo, s10
	v_mov_b32_e32 v5, 0
	s_mov_b32 s11, exec_lo
	s_mov_b32 s10, exec_lo
	v_mbcnt_lo_u32_b32 v4, s11, 0
	global_load_dwordx2 v[2:3], v5, s[6:7] offset:16
	v_cmpx_eq_u32_e32 0, v4
	s_cbranch_execz .LBB0_120
; %bb.119:
	s_bcnt1_i32_b32 s11, s11
	v_mov_b32_e32 v4, s11
	s_waitcnt vmcnt(0)
	global_atomic_add_x2 v[2:3], v[4:5], off offset:8
.LBB0_120:
	s_or_b32 exec_lo, exec_lo, s10
	s_waitcnt vmcnt(0)
	global_load_dwordx2 v[4:5], v[2:3], off offset:16
	s_waitcnt vmcnt(0)
	v_cmp_eq_u64_e32 vcc_lo, 0, v[4:5]
	s_cbranch_vccnz .LBB0_122
; %bb.121:
	global_load_dword v2, v[2:3], off offset:24
	v_mov_b32_e32 v3, 0
	s_waitcnt vmcnt(0)
	v_and_b32_e32 v6, 0x7fffff, v2
	s_waitcnt_vscnt null, 0x0
	global_store_dwordx2 v[4:5], v[2:3], off
	v_readfirstlane_b32 m0, v6
	s_sendmsg sendmsg(MSG_INTERRUPT)
.LBB0_122:
	s_or_b32 exec_lo, exec_lo, s5
	s_branch .LBB0_126
	.p2align	6
.LBB0_123:                              ;   in Loop: Header=BB0_126 Depth=1
	s_or_b32 exec_lo, exec_lo, s5
	v_readfirstlane_b32 s5, v2
	s_cmp_eq_u32 s5, 0
	s_cbranch_scc1 .LBB0_125
; %bb.124:                              ;   in Loop: Header=BB0_126 Depth=1
	s_sleep 1
	s_cbranch_execnz .LBB0_126
	s_branch .LBB0_128
	.p2align	6
.LBB0_125:
	s_branch .LBB0_128
.LBB0_126:                              ; =>This Inner Loop Header: Depth=1
	v_mov_b32_e32 v2, 1
	s_and_saveexec_b32 s5, s4
	s_cbranch_execz .LBB0_123
; %bb.127:                              ;   in Loop: Header=BB0_126 Depth=1
	global_load_dword v2, v[10:11], off offset:20 glc dlc
	s_waitcnt vmcnt(0)
	buffer_gl1_inv
	buffer_gl0_inv
	v_and_b32_e32 v2, 1, v2
	s_branch .LBB0_123
.LBB0_128:
	global_load_dwordx2 v[2:3], v[12:13], off
	s_and_saveexec_b32 s5, s4
	s_cbranch_execz .LBB0_132
; %bb.129:
	v_mov_b32_e32 v10, 0
	s_clause 0x2
	global_load_dwordx2 v[6:7], v10, s[6:7] offset:40
	global_load_dwordx2 v[11:12], v10, s[6:7] offset:24 glc dlc
	global_load_dwordx2 v[8:9], v10, s[6:7]
	s_waitcnt vmcnt(2)
	v_add_co_u32 v13, vcc_lo, v6, 1
	v_add_co_ci_u32_e32 v14, vcc_lo, 0, v7, vcc_lo
	v_add_co_u32 v4, vcc_lo, v13, s8
	v_add_co_ci_u32_e32 v5, vcc_lo, s9, v14, vcc_lo
	v_cmp_eq_u64_e32 vcc_lo, 0, v[4:5]
	v_cndmask_b32_e32 v5, v5, v14, vcc_lo
	v_cndmask_b32_e32 v4, v4, v13, vcc_lo
	v_and_b32_e32 v7, v5, v7
	v_and_b32_e32 v6, v4, v6
	v_mul_lo_u32 v7, v7, 24
	v_mul_hi_u32 v13, v6, 24
	v_mul_lo_u32 v6, v6, 24
	v_add_nc_u32_e32 v7, v13, v7
	s_waitcnt vmcnt(0)
	v_add_co_u32 v8, vcc_lo, v8, v6
	v_mov_b32_e32 v6, v11
	v_add_co_ci_u32_e32 v9, vcc_lo, v9, v7, vcc_lo
	v_mov_b32_e32 v7, v12
	global_store_dwordx2 v[8:9], v[11:12], off
	s_waitcnt_vscnt null, 0x0
	global_atomic_cmpswap_x2 v[6:7], v10, v[4:7], s[6:7] offset:24 glc
	s_waitcnt vmcnt(0)
	v_cmp_ne_u64_e32 vcc_lo, v[6:7], v[11:12]
	s_and_b32 exec_lo, exec_lo, vcc_lo
	s_cbranch_execz .LBB0_132
; %bb.130:
	s_mov_b32 s4, 0
.LBB0_131:                              ; =>This Inner Loop Header: Depth=1
	s_sleep 1
	global_store_dwordx2 v[8:9], v[6:7], off
	s_waitcnt_vscnt null, 0x0
	global_atomic_cmpswap_x2 v[11:12], v10, v[4:7], s[6:7] offset:24 glc
	s_waitcnt vmcnt(0)
	v_cmp_eq_u64_e32 vcc_lo, v[11:12], v[6:7]
	v_mov_b32_e32 v6, v11
	v_mov_b32_e32 v7, v12
	s_or_b32 s4, vcc_lo, s4
	s_andn2_b32 exec_lo, exec_lo, s4
	s_cbranch_execnz .LBB0_131
.LBB0_132:
	s_or_b32 exec_lo, exec_lo, s5
.LBB0_133:
	v_cmp_ne_u64_e32 vcc_lo, 0, v[0:1]
	v_mov_b32_e32 v26, 0
	v_mov_b32_e32 v27, 0
	s_and_saveexec_b32 s5, vcc_lo
	s_cbranch_execnz .LBB0_158
; %bb.134:
	s_or_b32 exec_lo, exec_lo, s5
	s_and_saveexec_b32 s4, vcc_lo
	s_xor_b32 s12, exec_lo, s4
	s_cbranch_execnz .LBB0_161
.LBB0_135:
	s_andn2_saveexec_b32 s5, s12
	s_cbranch_execz .LBB0_251
.LBB0_136:
	v_readfirstlane_b32 s4, v33
	v_mov_b32_e32 v0, 0
	v_mov_b32_e32 v1, 0
	v_cmp_eq_u32_e64 s4, s4, v33
	s_and_saveexec_b32 s8, s4
	s_cbranch_execz .LBB0_142
; %bb.137:
	s_waitcnt vmcnt(0)
	v_mov_b32_e32 v4, 0
	s_mov_b32 s9, exec_lo
	global_load_dwordx2 v[7:8], v4, s[6:7] offset:24 glc dlc
	s_waitcnt vmcnt(0)
	buffer_gl1_inv
	buffer_gl0_inv
	s_clause 0x1
	global_load_dwordx2 v[0:1], v4, s[6:7] offset:40
	global_load_dwordx2 v[5:6], v4, s[6:7]
	s_waitcnt vmcnt(1)
	v_and_b32_e32 v1, v1, v8
	v_and_b32_e32 v0, v0, v7
	v_mul_lo_u32 v1, v1, 24
	v_mul_hi_u32 v9, v0, 24
	v_mul_lo_u32 v0, v0, 24
	v_add_nc_u32_e32 v1, v9, v1
	s_waitcnt vmcnt(0)
	v_add_co_u32 v0, vcc_lo, v5, v0
	v_add_co_ci_u32_e32 v1, vcc_lo, v6, v1, vcc_lo
	global_load_dwordx2 v[5:6], v[0:1], off glc dlc
	s_waitcnt vmcnt(0)
	global_atomic_cmpswap_x2 v[0:1], v4, v[5:8], s[6:7] offset:24 glc
	s_waitcnt vmcnt(0)
	buffer_gl1_inv
	buffer_gl0_inv
	v_cmpx_ne_u64_e64 v[0:1], v[7:8]
	s_cbranch_execz .LBB0_141
; %bb.138:
	s_mov_b32 s10, 0
	.p2align	6
.LBB0_139:                              ; =>This Inner Loop Header: Depth=1
	s_sleep 1
	s_clause 0x1
	global_load_dwordx2 v[5:6], v4, s[6:7] offset:40
	global_load_dwordx2 v[9:10], v4, s[6:7]
	v_mov_b32_e32 v8, v1
	v_mov_b32_e32 v7, v0
	s_waitcnt vmcnt(1)
	v_and_b32_e32 v0, v5, v7
	v_and_b32_e32 v5, v6, v8
	s_waitcnt vmcnt(0)
	v_mad_u64_u32 v[0:1], null, v0, 24, v[9:10]
	v_mad_u64_u32 v[5:6], null, v5, 24, v[1:2]
	v_mov_b32_e32 v1, v5
	global_load_dwordx2 v[5:6], v[0:1], off glc dlc
	s_waitcnt vmcnt(0)
	global_atomic_cmpswap_x2 v[0:1], v4, v[5:8], s[6:7] offset:24 glc
	s_waitcnt vmcnt(0)
	buffer_gl1_inv
	buffer_gl0_inv
	v_cmp_eq_u64_e32 vcc_lo, v[0:1], v[7:8]
	s_or_b32 s10, vcc_lo, s10
	s_andn2_b32 exec_lo, exec_lo, s10
	s_cbranch_execnz .LBB0_139
; %bb.140:
	s_or_b32 exec_lo, exec_lo, s10
.LBB0_141:
	s_or_b32 exec_lo, exec_lo, s9
.LBB0_142:
	s_or_b32 exec_lo, exec_lo, s8
	s_waitcnt vmcnt(0)
	v_mov_b32_e32 v4, 0
	v_readfirstlane_b32 s8, v0
	v_readfirstlane_b32 s9, v1
	s_mov_b32 s12, exec_lo
	s_clause 0x1
	global_load_dwordx2 v[10:11], v4, s[6:7] offset:40
	global_load_dwordx4 v[6:9], v4, s[6:7]
	s_waitcnt vmcnt(1)
	v_readfirstlane_b32 s10, v10
	v_readfirstlane_b32 s11, v11
	s_and_b64 s[10:11], s[8:9], s[10:11]
	s_mul_i32 s13, s11, 24
	s_mul_hi_u32 s14, s10, 24
	s_mul_i32 s15, s10, 24
	s_add_i32 s14, s14, s13
	s_waitcnt vmcnt(0)
	v_add_co_u32 v10, vcc_lo, v6, s15
	v_add_co_ci_u32_e32 v11, vcc_lo, s14, v7, vcc_lo
	s_and_saveexec_b32 s13, s4
	s_cbranch_execz .LBB0_144
; %bb.143:
	v_mov_b32_e32 v12, s12
	v_mov_b32_e32 v13, v4
	;; [unrolled: 1-line block ×4, first 2 shown]
	global_store_dwordx4 v[10:11], v[12:15], off offset:8
.LBB0_144:
	s_or_b32 exec_lo, exec_lo, s13
	s_lshl_b64 s[10:11], s[10:11], 12
	s_mov_b32 s12, 0
	v_add_co_u32 v0, vcc_lo, v8, s10
	v_add_co_ci_u32_e32 v1, vcc_lo, s11, v9, vcc_lo
	s_mov_b32 s13, s12
	s_mov_b32 s14, s12
	;; [unrolled: 1-line block ×3, first 2 shown]
	v_and_or_b32 v2, 0xffffff1d, v2, 34
	v_mov_b32_e32 v5, v4
	v_readfirstlane_b32 s10, v0
	v_readfirstlane_b32 s11, v1
	v_mov_b32_e32 v12, s12
	v_mov_b32_e32 v13, s13
	v_mov_b32_e32 v14, s14
	v_mov_b32_e32 v15, s15
	global_store_dwordx4 v32, v[2:5], s[10:11]
	global_store_dwordx4 v32, v[12:15], s[10:11] offset:16
	global_store_dwordx4 v32, v[12:15], s[10:11] offset:32
	;; [unrolled: 1-line block ×3, first 2 shown]
	s_and_saveexec_b32 s10, s4
	s_cbranch_execz .LBB0_152
; %bb.145:
	v_mov_b32_e32 v8, 0
	v_mov_b32_e32 v12, s8
	;; [unrolled: 1-line block ×3, first 2 shown]
	s_clause 0x1
	global_load_dwordx2 v[14:15], v8, s[6:7] offset:32 glc dlc
	global_load_dwordx2 v[0:1], v8, s[6:7] offset:40
	s_waitcnt vmcnt(0)
	v_readfirstlane_b32 s12, v0
	v_readfirstlane_b32 s13, v1
	s_and_b64 s[12:13], s[12:13], s[8:9]
	s_mul_i32 s11, s13, 24
	s_mul_hi_u32 s13, s12, 24
	s_mul_i32 s12, s12, 24
	s_add_i32 s13, s13, s11
	v_add_co_u32 v4, vcc_lo, v6, s12
	v_add_co_ci_u32_e32 v5, vcc_lo, s13, v7, vcc_lo
	s_mov_b32 s11, exec_lo
	global_store_dwordx2 v[4:5], v[14:15], off
	s_waitcnt_vscnt null, 0x0
	global_atomic_cmpswap_x2 v[2:3], v8, v[12:15], s[6:7] offset:32 glc
	s_waitcnt vmcnt(0)
	v_cmpx_ne_u64_e64 v[2:3], v[14:15]
	s_cbranch_execz .LBB0_148
; %bb.146:
	s_mov_b32 s12, 0
.LBB0_147:                              ; =>This Inner Loop Header: Depth=1
	v_mov_b32_e32 v0, s8
	v_mov_b32_e32 v1, s9
	s_sleep 1
	global_store_dwordx2 v[4:5], v[2:3], off
	s_waitcnt_vscnt null, 0x0
	global_atomic_cmpswap_x2 v[0:1], v8, v[0:3], s[6:7] offset:32 glc
	s_waitcnt vmcnt(0)
	v_cmp_eq_u64_e32 vcc_lo, v[0:1], v[2:3]
	v_mov_b32_e32 v3, v1
	v_mov_b32_e32 v2, v0
	s_or_b32 s12, vcc_lo, s12
	s_andn2_b32 exec_lo, exec_lo, s12
	s_cbranch_execnz .LBB0_147
.LBB0_148:
	s_or_b32 exec_lo, exec_lo, s11
	v_mov_b32_e32 v3, 0
	s_mov_b32 s12, exec_lo
	s_mov_b32 s11, exec_lo
	v_mbcnt_lo_u32_b32 v2, s12, 0
	global_load_dwordx2 v[0:1], v3, s[6:7] offset:16
	v_cmpx_eq_u32_e32 0, v2
	s_cbranch_execz .LBB0_150
; %bb.149:
	s_bcnt1_i32_b32 s12, s12
	v_mov_b32_e32 v2, s12
	s_waitcnt vmcnt(0)
	global_atomic_add_x2 v[0:1], v[2:3], off offset:8
.LBB0_150:
	s_or_b32 exec_lo, exec_lo, s11
	s_waitcnt vmcnt(0)
	global_load_dwordx2 v[2:3], v[0:1], off offset:16
	s_waitcnt vmcnt(0)
	v_cmp_eq_u64_e32 vcc_lo, 0, v[2:3]
	s_cbranch_vccnz .LBB0_152
; %bb.151:
	global_load_dword v0, v[0:1], off offset:24
	v_mov_b32_e32 v1, 0
	s_waitcnt vmcnt(0)
	v_and_b32_e32 v4, 0x7fffff, v0
	s_waitcnt_vscnt null, 0x0
	global_store_dwordx2 v[2:3], v[0:1], off
	v_readfirstlane_b32 m0, v4
	s_sendmsg sendmsg(MSG_INTERRUPT)
.LBB0_152:
	s_or_b32 exec_lo, exec_lo, s10
	s_branch .LBB0_156
	.p2align	6
.LBB0_153:                              ;   in Loop: Header=BB0_156 Depth=1
	s_or_b32 exec_lo, exec_lo, s10
	v_readfirstlane_b32 s10, v0
	s_cmp_eq_u32 s10, 0
	s_cbranch_scc1 .LBB0_155
; %bb.154:                              ;   in Loop: Header=BB0_156 Depth=1
	s_sleep 1
	s_cbranch_execnz .LBB0_156
	s_branch .LBB0_245
	.p2align	6
.LBB0_155:
	s_branch .LBB0_245
.LBB0_156:                              ; =>This Inner Loop Header: Depth=1
	v_mov_b32_e32 v0, 1
	s_and_saveexec_b32 s10, s4
	s_cbranch_execz .LBB0_153
; %bb.157:                              ;   in Loop: Header=BB0_156 Depth=1
	global_load_dword v0, v[10:11], off offset:20 glc dlc
	s_waitcnt vmcnt(0)
	buffer_gl1_inv
	buffer_gl0_inv
	v_and_b32_e32 v0, 1, v0
	s_branch .LBB0_153
.LBB0_158:
	s_waitcnt vmcnt(0)
	v_add_co_u32 v4, s4, v0, -1
	v_add_co_ci_u32_e64 v5, s4, -1, v1, s4
	s_mov_b32 s8, 0
.LBB0_159:                              ; =>This Inner Loop Header: Depth=1
	flat_load_ubyte v8, v[4:5] offset:1
	v_add_co_u32 v6, s4, v4, 1
	v_add_co_ci_u32_e64 v7, s4, 0, v5, s4
	v_mov_b32_e32 v4, v6
	v_mov_b32_e32 v5, v7
	s_waitcnt vmcnt(0) lgkmcnt(0)
	v_cmp_eq_u16_e64 s4, 0, v8
	s_or_b32 s8, s4, s8
	s_andn2_b32 exec_lo, exec_lo, s8
	s_cbranch_execnz .LBB0_159
; %bb.160:
	s_or_b32 exec_lo, exec_lo, s8
	v_sub_co_u32 v4, s4, v6, v0
	v_sub_co_ci_u32_e64 v5, s4, v7, v1, s4
	v_add_co_u32 v26, s4, v4, 1
	v_add_co_ci_u32_e64 v27, s4, 0, v5, s4
	s_or_b32 exec_lo, exec_lo, s5
	s_and_saveexec_b32 s4, vcc_lo
	s_xor_b32 s12, exec_lo, s4
	s_cbranch_execz .LBB0_135
.LBB0_161:
	s_waitcnt vmcnt(0)
	v_and_b32_e32 v2, -3, v2
	v_mov_b32_e32 v7, 0
	v_mov_b32_e32 v8, 2
	;; [unrolled: 1-line block ×3, first 2 shown]
	s_mov_b32 s14, 0
	s_mov_b32 s13, 0
	s_branch .LBB0_163
.LBB0_162:                              ;   in Loop: Header=BB0_163 Depth=1
	s_or_b32 exec_lo, exec_lo, s5
	v_sub_co_u32 v26, vcc_lo, v26, v28
	v_sub_co_ci_u32_e32 v27, vcc_lo, v27, v29, vcc_lo
	v_add_co_u32 v0, s4, v0, v28
	v_add_co_ci_u32_e64 v1, s4, v1, v29, s4
	v_cmp_eq_u64_e32 vcc_lo, 0, v[26:27]
	s_or_b32 s13, vcc_lo, s13
	s_andn2_b32 exec_lo, exec_lo, s13
	s_cbranch_execz .LBB0_250
.LBB0_163:                              ; =>This Loop Header: Depth=1
                                        ;     Child Loop BB0_166 Depth 2
                                        ;     Child Loop BB0_174 Depth 2
	;; [unrolled: 1-line block ×11, first 2 shown]
	v_cmp_gt_u64_e32 vcc_lo, 56, v[26:27]
	s_mov_b32 s5, exec_lo
                                        ; implicit-def: $sgpr8
	v_cndmask_b32_e32 v29, 0, v27, vcc_lo
	v_cndmask_b32_e32 v28, 56, v26, vcc_lo
	v_cmpx_gt_u64_e32 8, v[26:27]
	s_xor_b32 s5, exec_lo, s5
	s_cbranch_execz .LBB0_169
; %bb.164:                              ;   in Loop: Header=BB0_163 Depth=1
	s_waitcnt vmcnt(0)
	v_mov_b32_e32 v4, 0
	v_mov_b32_e32 v5, 0
	s_mov_b64 s[8:9], 0
	s_mov_b32 s10, exec_lo
	v_cmpx_ne_u64_e32 0, v[26:27]
	s_cbranch_execz .LBB0_168
; %bb.165:                              ;   in Loop: Header=BB0_163 Depth=1
	v_lshlrev_b64 v[10:11], 3, v[28:29]
	v_mov_b32_e32 v4, 0
	v_mov_b32_e32 v12, v1
	;; [unrolled: 1-line block ×4, first 2 shown]
	s_mov_b32 s11, 0
	.p2align	6
.LBB0_166:                              ;   Parent Loop BB0_163 Depth=1
                                        ; =>  This Inner Loop Header: Depth=2
	flat_load_ubyte v6, v[11:12]
	v_mov_b32_e32 v14, s14
	v_add_co_u32 v11, vcc_lo, v11, 1
	v_add_co_ci_u32_e32 v12, vcc_lo, 0, v12, vcc_lo
	s_waitcnt vmcnt(0) lgkmcnt(0)
	v_and_b32_e32 v13, 0xffff, v6
	v_lshlrev_b64 v[13:14], s8, v[13:14]
	s_add_u32 s8, s8, 8
	s_addc_u32 s9, s9, 0
	v_cmp_eq_u32_e64 s4, s8, v10
	v_or_b32_e32 v5, v14, v5
	v_or_b32_e32 v4, v13, v4
	s_or_b32 s11, s4, s11
	s_andn2_b32 exec_lo, exec_lo, s11
	s_cbranch_execnz .LBB0_166
; %bb.167:                              ;   in Loop: Header=BB0_163 Depth=1
	s_or_b32 exec_lo, exec_lo, s11
.LBB0_168:                              ;   in Loop: Header=BB0_163 Depth=1
	s_or_b32 exec_lo, exec_lo, s10
	s_mov_b32 s8, 0
.LBB0_169:                              ;   in Loop: Header=BB0_163 Depth=1
	s_or_saveexec_b32 s4, s5
	v_mov_b32_e32 v23, v1
	v_mov_b32_e32 v6, s8
	;; [unrolled: 1-line block ×3, first 2 shown]
	s_xor_b32 exec_lo, exec_lo, s4
	s_cbranch_execz .LBB0_171
; %bb.170:                              ;   in Loop: Header=BB0_163 Depth=1
	s_waitcnt vmcnt(0)
	flat_load_dwordx2 v[4:5], v[0:1]
	v_add_co_u32 v22, vcc_lo, v0, 8
	v_add_co_ci_u32_e32 v23, vcc_lo, 0, v1, vcc_lo
	s_waitcnt vmcnt(0) lgkmcnt(0)
	v_and_b32_e32 v6, 0xff, v5
	v_and_b32_e32 v10, 0xff00, v5
	;; [unrolled: 1-line block ×4, first 2 shown]
	v_or3_b32 v4, v4, 0, 0
	v_or_b32_e32 v10, v6, v10
	v_add_nc_u32_e32 v6, -8, v28
	v_or3_b32 v5, v10, v11, v5
.LBB0_171:                              ;   in Loop: Header=BB0_163 Depth=1
	s_or_b32 exec_lo, exec_lo, s4
                                        ; implicit-def: $vgpr10_vgpr11
                                        ; implicit-def: $sgpr5
	s_mov_b32 s4, exec_lo
	v_cmpx_gt_u32_e32 8, v6
	s_xor_b32 s10, exec_lo, s4
	s_cbranch_execz .LBB0_177
; %bb.172:                              ;   in Loop: Header=BB0_163 Depth=1
	v_mov_b32_e32 v10, 0
	v_mov_b32_e32 v11, 0
	s_mov_b32 s11, exec_lo
	v_cmpx_ne_u32_e32 0, v6
	s_cbranch_execz .LBB0_176
; %bb.173:                              ;   in Loop: Header=BB0_163 Depth=1
	v_mov_b32_e32 v10, 0
	v_mov_b32_e32 v11, 0
	s_mov_b64 s[4:5], 0
	s_mov_b32 s15, 0
	s_mov_b64 s[8:9], 0
	.p2align	6
.LBB0_174:                              ;   Parent Loop BB0_163 Depth=1
                                        ; =>  This Inner Loop Header: Depth=2
	v_add_co_u32 v12, vcc_lo, v22, s8
	v_add_co_ci_u32_e32 v13, vcc_lo, s9, v23, vcc_lo
	s_add_u32 s8, s8, 1
	s_addc_u32 s9, s9, 0
	v_cmp_eq_u32_e32 vcc_lo, s8, v6
	flat_load_ubyte v12, v[12:13]
	v_mov_b32_e32 v13, s14
	s_waitcnt vmcnt(0) lgkmcnt(0)
	v_and_b32_e32 v12, 0xffff, v12
	v_lshlrev_b64 v[12:13], s4, v[12:13]
	s_add_u32 s4, s4, 8
	s_addc_u32 s5, s5, 0
	s_or_b32 s15, vcc_lo, s15
	v_or_b32_e32 v11, v13, v11
	v_or_b32_e32 v10, v12, v10
	s_andn2_b32 exec_lo, exec_lo, s15
	s_cbranch_execnz .LBB0_174
; %bb.175:                              ;   in Loop: Header=BB0_163 Depth=1
	s_or_b32 exec_lo, exec_lo, s15
.LBB0_176:                              ;   in Loop: Header=BB0_163 Depth=1
	s_or_b32 exec_lo, exec_lo, s11
	s_mov_b32 s5, 0
                                        ; implicit-def: $vgpr6
.LBB0_177:                              ;   in Loop: Header=BB0_163 Depth=1
	s_or_saveexec_b32 s4, s10
	v_mov_b32_e32 v14, s5
	s_xor_b32 exec_lo, exec_lo, s4
	s_cbranch_execz .LBB0_179
; %bb.178:                              ;   in Loop: Header=BB0_163 Depth=1
	flat_load_dwordx2 v[10:11], v[22:23]
	v_add_co_u32 v22, vcc_lo, v22, 8
	v_add_nc_u32_e32 v14, -8, v6
	v_add_co_ci_u32_e32 v23, vcc_lo, 0, v23, vcc_lo
	s_waitcnt vmcnt(0) lgkmcnt(0)
	v_and_b32_e32 v12, 0xff, v11
	v_and_b32_e32 v13, 0xff00, v11
	;; [unrolled: 1-line block ×4, first 2 shown]
	v_or3_b32 v10, v10, 0, 0
	v_or_b32_e32 v12, v12, v13
	v_or3_b32 v11, v12, v15, v11
.LBB0_179:                              ;   in Loop: Header=BB0_163 Depth=1
	s_or_b32 exec_lo, exec_lo, s4
                                        ; implicit-def: $sgpr5
	s_mov_b32 s4, exec_lo
	v_cmpx_gt_u32_e32 8, v14
	s_xor_b32 s10, exec_lo, s4
	s_cbranch_execz .LBB0_185
; %bb.180:                              ;   in Loop: Header=BB0_163 Depth=1
	v_mov_b32_e32 v12, 0
	v_mov_b32_e32 v13, 0
	s_mov_b32 s11, exec_lo
	v_cmpx_ne_u32_e32 0, v14
	s_cbranch_execz .LBB0_184
; %bb.181:                              ;   in Loop: Header=BB0_163 Depth=1
	v_mov_b32_e32 v12, 0
	v_mov_b32_e32 v13, 0
	s_mov_b64 s[4:5], 0
	s_mov_b32 s15, 0
	s_mov_b64 s[8:9], 0
	.p2align	6
.LBB0_182:                              ;   Parent Loop BB0_163 Depth=1
                                        ; =>  This Inner Loop Header: Depth=2
	v_add_co_u32 v15, vcc_lo, v22, s8
	v_add_co_ci_u32_e32 v16, vcc_lo, s9, v23, vcc_lo
	s_add_u32 s8, s8, 1
	s_addc_u32 s9, s9, 0
	v_cmp_eq_u32_e32 vcc_lo, s8, v14
	flat_load_ubyte v6, v[15:16]
	v_mov_b32_e32 v16, s14
	s_waitcnt vmcnt(0) lgkmcnt(0)
	v_and_b32_e32 v15, 0xffff, v6
	v_lshlrev_b64 v[15:16], s4, v[15:16]
	s_add_u32 s4, s4, 8
	s_addc_u32 s5, s5, 0
	s_or_b32 s15, vcc_lo, s15
	v_or_b32_e32 v13, v16, v13
	v_or_b32_e32 v12, v15, v12
	s_andn2_b32 exec_lo, exec_lo, s15
	s_cbranch_execnz .LBB0_182
; %bb.183:                              ;   in Loop: Header=BB0_163 Depth=1
	s_or_b32 exec_lo, exec_lo, s15
.LBB0_184:                              ;   in Loop: Header=BB0_163 Depth=1
	s_or_b32 exec_lo, exec_lo, s11
	s_mov_b32 s5, 0
                                        ; implicit-def: $vgpr14
.LBB0_185:                              ;   in Loop: Header=BB0_163 Depth=1
	s_or_saveexec_b32 s4, s10
	v_mov_b32_e32 v6, s5
	s_xor_b32 exec_lo, exec_lo, s4
	s_cbranch_execz .LBB0_187
; %bb.186:                              ;   in Loop: Header=BB0_163 Depth=1
	flat_load_dwordx2 v[12:13], v[22:23]
	v_add_co_u32 v22, vcc_lo, v22, 8
	v_add_co_ci_u32_e32 v23, vcc_lo, 0, v23, vcc_lo
	s_waitcnt vmcnt(0) lgkmcnt(0)
	v_and_b32_e32 v6, 0xff, v13
	v_and_b32_e32 v15, 0xff00, v13
	;; [unrolled: 1-line block ×4, first 2 shown]
	v_or3_b32 v12, v12, 0, 0
	v_or_b32_e32 v15, v6, v15
	v_add_nc_u32_e32 v6, -8, v14
	v_or3_b32 v13, v15, v16, v13
.LBB0_187:                              ;   in Loop: Header=BB0_163 Depth=1
	s_or_b32 exec_lo, exec_lo, s4
                                        ; implicit-def: $vgpr14_vgpr15
                                        ; implicit-def: $sgpr5
	s_mov_b32 s4, exec_lo
	v_cmpx_gt_u32_e32 8, v6
	s_xor_b32 s10, exec_lo, s4
	s_cbranch_execz .LBB0_193
; %bb.188:                              ;   in Loop: Header=BB0_163 Depth=1
	v_mov_b32_e32 v14, 0
	v_mov_b32_e32 v15, 0
	s_mov_b32 s11, exec_lo
	v_cmpx_ne_u32_e32 0, v6
	s_cbranch_execz .LBB0_192
; %bb.189:                              ;   in Loop: Header=BB0_163 Depth=1
	v_mov_b32_e32 v14, 0
	v_mov_b32_e32 v15, 0
	s_mov_b64 s[4:5], 0
	s_mov_b32 s15, 0
	s_mov_b64 s[8:9], 0
	.p2align	6
.LBB0_190:                              ;   Parent Loop BB0_163 Depth=1
                                        ; =>  This Inner Loop Header: Depth=2
	v_add_co_u32 v16, vcc_lo, v22, s8
	v_add_co_ci_u32_e32 v17, vcc_lo, s9, v23, vcc_lo
	s_add_u32 s8, s8, 1
	s_addc_u32 s9, s9, 0
	v_cmp_eq_u32_e32 vcc_lo, s8, v6
	flat_load_ubyte v16, v[16:17]
	v_mov_b32_e32 v17, s14
	s_waitcnt vmcnt(0) lgkmcnt(0)
	v_and_b32_e32 v16, 0xffff, v16
	v_lshlrev_b64 v[16:17], s4, v[16:17]
	s_add_u32 s4, s4, 8
	s_addc_u32 s5, s5, 0
	s_or_b32 s15, vcc_lo, s15
	v_or_b32_e32 v15, v17, v15
	v_or_b32_e32 v14, v16, v14
	s_andn2_b32 exec_lo, exec_lo, s15
	s_cbranch_execnz .LBB0_190
; %bb.191:                              ;   in Loop: Header=BB0_163 Depth=1
	s_or_b32 exec_lo, exec_lo, s15
.LBB0_192:                              ;   in Loop: Header=BB0_163 Depth=1
	s_or_b32 exec_lo, exec_lo, s11
	s_mov_b32 s5, 0
                                        ; implicit-def: $vgpr6
.LBB0_193:                              ;   in Loop: Header=BB0_163 Depth=1
	s_or_saveexec_b32 s4, s10
	v_mov_b32_e32 v18, s5
	s_xor_b32 exec_lo, exec_lo, s4
	s_cbranch_execz .LBB0_195
; %bb.194:                              ;   in Loop: Header=BB0_163 Depth=1
	flat_load_dwordx2 v[14:15], v[22:23]
	v_add_co_u32 v22, vcc_lo, v22, 8
	v_add_nc_u32_e32 v18, -8, v6
	v_add_co_ci_u32_e32 v23, vcc_lo, 0, v23, vcc_lo
	s_waitcnt vmcnt(0) lgkmcnt(0)
	v_and_b32_e32 v16, 0xff, v15
	v_and_b32_e32 v17, 0xff00, v15
	;; [unrolled: 1-line block ×4, first 2 shown]
	v_or3_b32 v14, v14, 0, 0
	v_or_b32_e32 v16, v16, v17
	v_or3_b32 v15, v16, v19, v15
.LBB0_195:                              ;   in Loop: Header=BB0_163 Depth=1
	s_or_b32 exec_lo, exec_lo, s4
                                        ; implicit-def: $sgpr5
	s_mov_b32 s4, exec_lo
	v_cmpx_gt_u32_e32 8, v18
	s_xor_b32 s10, exec_lo, s4
	s_cbranch_execz .LBB0_201
; %bb.196:                              ;   in Loop: Header=BB0_163 Depth=1
	v_mov_b32_e32 v16, 0
	v_mov_b32_e32 v17, 0
	s_mov_b32 s11, exec_lo
	v_cmpx_ne_u32_e32 0, v18
	s_cbranch_execz .LBB0_200
; %bb.197:                              ;   in Loop: Header=BB0_163 Depth=1
	v_mov_b32_e32 v16, 0
	v_mov_b32_e32 v17, 0
	s_mov_b64 s[4:5], 0
	s_mov_b32 s15, 0
	s_mov_b64 s[8:9], 0
	.p2align	6
.LBB0_198:                              ;   Parent Loop BB0_163 Depth=1
                                        ; =>  This Inner Loop Header: Depth=2
	v_add_co_u32 v19, vcc_lo, v22, s8
	v_add_co_ci_u32_e32 v20, vcc_lo, s9, v23, vcc_lo
	s_add_u32 s8, s8, 1
	s_addc_u32 s9, s9, 0
	v_cmp_eq_u32_e32 vcc_lo, s8, v18
	flat_load_ubyte v6, v[19:20]
	v_mov_b32_e32 v20, s14
	s_waitcnt vmcnt(0) lgkmcnt(0)
	v_and_b32_e32 v19, 0xffff, v6
	v_lshlrev_b64 v[19:20], s4, v[19:20]
	s_add_u32 s4, s4, 8
	s_addc_u32 s5, s5, 0
	s_or_b32 s15, vcc_lo, s15
	v_or_b32_e32 v17, v20, v17
	v_or_b32_e32 v16, v19, v16
	s_andn2_b32 exec_lo, exec_lo, s15
	s_cbranch_execnz .LBB0_198
; %bb.199:                              ;   in Loop: Header=BB0_163 Depth=1
	s_or_b32 exec_lo, exec_lo, s15
.LBB0_200:                              ;   in Loop: Header=BB0_163 Depth=1
	s_or_b32 exec_lo, exec_lo, s11
	s_mov_b32 s5, 0
                                        ; implicit-def: $vgpr18
.LBB0_201:                              ;   in Loop: Header=BB0_163 Depth=1
	s_or_saveexec_b32 s4, s10
	v_mov_b32_e32 v6, s5
	s_xor_b32 exec_lo, exec_lo, s4
	s_cbranch_execz .LBB0_203
; %bb.202:                              ;   in Loop: Header=BB0_163 Depth=1
	flat_load_dwordx2 v[16:17], v[22:23]
	v_add_co_u32 v22, vcc_lo, v22, 8
	v_add_co_ci_u32_e32 v23, vcc_lo, 0, v23, vcc_lo
	s_waitcnt vmcnt(0) lgkmcnt(0)
	v_and_b32_e32 v6, 0xff, v17
	v_and_b32_e32 v19, 0xff00, v17
	;; [unrolled: 1-line block ×4, first 2 shown]
	v_or3_b32 v16, v16, 0, 0
	v_or_b32_e32 v19, v6, v19
	v_add_nc_u32_e32 v6, -8, v18
	v_or3_b32 v17, v19, v20, v17
.LBB0_203:                              ;   in Loop: Header=BB0_163 Depth=1
	s_or_b32 exec_lo, exec_lo, s4
                                        ; implicit-def: $vgpr18_vgpr19
                                        ; implicit-def: $sgpr5
	s_mov_b32 s4, exec_lo
	v_cmpx_gt_u32_e32 8, v6
	s_xor_b32 s10, exec_lo, s4
	s_cbranch_execz .LBB0_209
; %bb.204:                              ;   in Loop: Header=BB0_163 Depth=1
	v_mov_b32_e32 v18, 0
	v_mov_b32_e32 v19, 0
	s_mov_b32 s11, exec_lo
	v_cmpx_ne_u32_e32 0, v6
	s_cbranch_execz .LBB0_208
; %bb.205:                              ;   in Loop: Header=BB0_163 Depth=1
	v_mov_b32_e32 v18, 0
	v_mov_b32_e32 v19, 0
	s_mov_b64 s[4:5], 0
	s_mov_b32 s15, 0
	s_mov_b64 s[8:9], 0
	.p2align	6
.LBB0_206:                              ;   Parent Loop BB0_163 Depth=1
                                        ; =>  This Inner Loop Header: Depth=2
	v_add_co_u32 v20, vcc_lo, v22, s8
	v_add_co_ci_u32_e32 v21, vcc_lo, s9, v23, vcc_lo
	s_add_u32 s8, s8, 1
	s_addc_u32 s9, s9, 0
	v_cmp_eq_u32_e32 vcc_lo, s8, v6
	flat_load_ubyte v20, v[20:21]
	v_mov_b32_e32 v21, s14
	s_waitcnt vmcnt(0) lgkmcnt(0)
	v_and_b32_e32 v20, 0xffff, v20
	v_lshlrev_b64 v[20:21], s4, v[20:21]
	s_add_u32 s4, s4, 8
	s_addc_u32 s5, s5, 0
	s_or_b32 s15, vcc_lo, s15
	v_or_b32_e32 v19, v21, v19
	v_or_b32_e32 v18, v20, v18
	s_andn2_b32 exec_lo, exec_lo, s15
	s_cbranch_execnz .LBB0_206
; %bb.207:                              ;   in Loop: Header=BB0_163 Depth=1
	s_or_b32 exec_lo, exec_lo, s15
.LBB0_208:                              ;   in Loop: Header=BB0_163 Depth=1
	s_or_b32 exec_lo, exec_lo, s11
	s_mov_b32 s5, 0
                                        ; implicit-def: $vgpr6
.LBB0_209:                              ;   in Loop: Header=BB0_163 Depth=1
	s_or_saveexec_b32 s4, s10
	v_mov_b32_e32 v24, s5
	s_xor_b32 exec_lo, exec_lo, s4
	s_cbranch_execz .LBB0_211
; %bb.210:                              ;   in Loop: Header=BB0_163 Depth=1
	flat_load_dwordx2 v[18:19], v[22:23]
	v_add_co_u32 v22, vcc_lo, v22, 8
	v_add_nc_u32_e32 v24, -8, v6
	v_add_co_ci_u32_e32 v23, vcc_lo, 0, v23, vcc_lo
	s_waitcnt vmcnt(0) lgkmcnt(0)
	v_and_b32_e32 v20, 0xff, v19
	v_and_b32_e32 v21, 0xff00, v19
	;; [unrolled: 1-line block ×4, first 2 shown]
	v_or3_b32 v18, v18, 0, 0
	v_or_b32_e32 v20, v20, v21
	v_or3_b32 v19, v20, v25, v19
.LBB0_211:                              ;   in Loop: Header=BB0_163 Depth=1
	s_or_b32 exec_lo, exec_lo, s4
	s_mov_b32 s4, exec_lo
	v_cmpx_gt_u32_e32 8, v24
	s_xor_b32 s8, exec_lo, s4
	s_cbranch_execz .LBB0_217
; %bb.212:                              ;   in Loop: Header=BB0_163 Depth=1
	v_mov_b32_e32 v20, 0
	v_mov_b32_e32 v21, 0
	s_mov_b32 s9, exec_lo
	v_cmpx_ne_u32_e32 0, v24
	s_cbranch_execz .LBB0_216
; %bb.213:                              ;   in Loop: Header=BB0_163 Depth=1
	v_mov_b32_e32 v20, 0
	v_mov_b32_e32 v21, 0
	s_mov_b64 s[4:5], 0
	s_mov_b32 s10, 0
	.p2align	6
.LBB0_214:                              ;   Parent Loop BB0_163 Depth=1
                                        ; =>  This Inner Loop Header: Depth=2
	flat_load_ubyte v6, v[22:23]
	v_mov_b32_e32 v31, s14
	v_add_nc_u32_e32 v24, -1, v24
	v_add_co_u32 v22, vcc_lo, v22, 1
	v_add_co_ci_u32_e32 v23, vcc_lo, 0, v23, vcc_lo
	v_cmp_eq_u32_e32 vcc_lo, 0, v24
	s_waitcnt vmcnt(0) lgkmcnt(0)
	v_and_b32_e32 v30, 0xffff, v6
	v_lshlrev_b64 v[30:31], s4, v[30:31]
	s_add_u32 s4, s4, 8
	s_addc_u32 s5, s5, 0
	s_or_b32 s10, vcc_lo, s10
	v_or_b32_e32 v21, v31, v21
	v_or_b32_e32 v20, v30, v20
	s_andn2_b32 exec_lo, exec_lo, s10
	s_cbranch_execnz .LBB0_214
; %bb.215:                              ;   in Loop: Header=BB0_163 Depth=1
	s_or_b32 exec_lo, exec_lo, s10
.LBB0_216:                              ;   in Loop: Header=BB0_163 Depth=1
	s_or_b32 exec_lo, exec_lo, s9
                                        ; implicit-def: $vgpr22_vgpr23
.LBB0_217:                              ;   in Loop: Header=BB0_163 Depth=1
	s_andn2_saveexec_b32 s4, s8
	s_cbranch_execz .LBB0_219
; %bb.218:                              ;   in Loop: Header=BB0_163 Depth=1
	flat_load_dwordx2 v[20:21], v[22:23]
	s_waitcnt vmcnt(0) lgkmcnt(0)
	v_and_b32_e32 v6, 0xff, v21
	v_and_b32_e32 v22, 0xff00, v21
	;; [unrolled: 1-line block ×4, first 2 shown]
	v_or3_b32 v20, v20, 0, 0
	v_or_b32_e32 v6, v6, v22
	v_or3_b32 v21, v6, v23, v21
.LBB0_219:                              ;   in Loop: Header=BB0_163 Depth=1
	s_or_b32 exec_lo, exec_lo, s4
	v_readfirstlane_b32 s4, v33
	v_mov_b32_e32 v30, 0
	v_mov_b32_e32 v31, 0
	v_cmp_eq_u32_e64 s4, s4, v33
	s_and_saveexec_b32 s5, s4
	s_cbranch_execz .LBB0_225
; %bb.220:                              ;   in Loop: Header=BB0_163 Depth=1
	global_load_dwordx2 v[24:25], v7, s[6:7] offset:24 glc dlc
	s_waitcnt vmcnt(0)
	buffer_gl1_inv
	buffer_gl0_inv
	s_clause 0x1
	global_load_dwordx2 v[22:23], v7, s[6:7] offset:40
	global_load_dwordx2 v[30:31], v7, s[6:7]
	s_mov_b32 s8, exec_lo
	s_waitcnt vmcnt(1)
	v_and_b32_e32 v6, v23, v25
	v_and_b32_e32 v22, v22, v24
	v_mul_lo_u32 v6, v6, 24
	v_mul_hi_u32 v23, v22, 24
	v_mul_lo_u32 v22, v22, 24
	v_add_nc_u32_e32 v6, v23, v6
	s_waitcnt vmcnt(0)
	v_add_co_u32 v22, vcc_lo, v30, v22
	v_add_co_ci_u32_e32 v23, vcc_lo, v31, v6, vcc_lo
	global_load_dwordx2 v[22:23], v[22:23], off glc dlc
	s_waitcnt vmcnt(0)
	global_atomic_cmpswap_x2 v[30:31], v7, v[22:25], s[6:7] offset:24 glc
	s_waitcnt vmcnt(0)
	buffer_gl1_inv
	buffer_gl0_inv
	v_cmpx_ne_u64_e64 v[30:31], v[24:25]
	s_cbranch_execz .LBB0_224
; %bb.221:                              ;   in Loop: Header=BB0_163 Depth=1
	s_mov_b32 s9, 0
	.p2align	6
.LBB0_222:                              ;   Parent Loop BB0_163 Depth=1
                                        ; =>  This Inner Loop Header: Depth=2
	s_sleep 1
	s_clause 0x1
	global_load_dwordx2 v[22:23], v7, s[6:7] offset:40
	global_load_dwordx2 v[34:35], v7, s[6:7]
	v_mov_b32_e32 v24, v30
	v_mov_b32_e32 v25, v31
	s_waitcnt vmcnt(1)
	v_and_b32_e32 v6, v22, v24
	v_and_b32_e32 v22, v23, v25
	s_waitcnt vmcnt(0)
	v_mad_u64_u32 v[30:31], null, v6, 24, v[34:35]
	v_mov_b32_e32 v6, v31
	v_mad_u64_u32 v[22:23], null, v22, 24, v[6:7]
	v_mov_b32_e32 v31, v22
	global_load_dwordx2 v[22:23], v[30:31], off glc dlc
	s_waitcnt vmcnt(0)
	global_atomic_cmpswap_x2 v[30:31], v7, v[22:25], s[6:7] offset:24 glc
	s_waitcnt vmcnt(0)
	buffer_gl1_inv
	buffer_gl0_inv
	v_cmp_eq_u64_e32 vcc_lo, v[30:31], v[24:25]
	s_or_b32 s9, vcc_lo, s9
	s_andn2_b32 exec_lo, exec_lo, s9
	s_cbranch_execnz .LBB0_222
; %bb.223:                              ;   in Loop: Header=BB0_163 Depth=1
	s_or_b32 exec_lo, exec_lo, s9
.LBB0_224:                              ;   in Loop: Header=BB0_163 Depth=1
	s_or_b32 exec_lo, exec_lo, s8
.LBB0_225:                              ;   in Loop: Header=BB0_163 Depth=1
	s_or_b32 exec_lo, exec_lo, s5
	s_clause 0x1
	global_load_dwordx2 v[34:35], v7, s[6:7] offset:40
	global_load_dwordx4 v[22:25], v7, s[6:7]
	v_readfirstlane_b32 s8, v30
	v_readfirstlane_b32 s9, v31
	s_mov_b32 s5, exec_lo
	s_waitcnt vmcnt(1)
	v_readfirstlane_b32 s10, v34
	v_readfirstlane_b32 s11, v35
	s_and_b64 s[10:11], s[8:9], s[10:11]
	s_mul_i32 s15, s11, 24
	s_mul_hi_u32 s16, s10, 24
	s_mul_i32 s17, s10, 24
	s_add_i32 s16, s16, s15
	s_waitcnt vmcnt(0)
	v_add_co_u32 v30, vcc_lo, v22, s17
	v_add_co_ci_u32_e32 v31, vcc_lo, s16, v23, vcc_lo
	s_and_saveexec_b32 s15, s4
	s_cbranch_execz .LBB0_227
; %bb.226:                              ;   in Loop: Header=BB0_163 Depth=1
	v_mov_b32_e32 v6, s5
	global_store_dwordx4 v[30:31], v[6:9], off offset:8
.LBB0_227:                              ;   in Loop: Header=BB0_163 Depth=1
	s_or_b32 exec_lo, exec_lo, s15
	s_lshl_b64 s[10:11], s[10:11], 12
	v_or_b32_e32 v6, 2, v2
	v_add_co_u32 v24, vcc_lo, v24, s10
	v_add_co_ci_u32_e32 v25, vcc_lo, s11, v25, vcc_lo
	v_cmp_lt_u64_e32 vcc_lo, 56, v[26:27]
	v_lshl_add_u32 v34, v28, 2, 28
	v_readfirstlane_b32 s10, v24
	v_readfirstlane_b32 s11, v25
	v_cndmask_b32_e32 v2, v6, v2, vcc_lo
	v_and_b32_e32 v6, 0x1e0, v34
	v_and_or_b32 v2, 0xffffff1f, v2, v6
	global_store_dwordx4 v32, v[10:13], s[10:11] offset:16
	global_store_dwordx4 v32, v[14:17], s[10:11] offset:32
	global_store_dwordx4 v32, v[2:5], s[10:11]
	global_store_dwordx4 v32, v[18:21], s[10:11] offset:48
	s_and_saveexec_b32 s5, s4
	s_cbranch_execz .LBB0_235
; %bb.228:                              ;   in Loop: Header=BB0_163 Depth=1
	s_clause 0x1
	global_load_dwordx2 v[14:15], v7, s[6:7] offset:32 glc dlc
	global_load_dwordx2 v[2:3], v7, s[6:7] offset:40
	v_mov_b32_e32 v12, s8
	v_mov_b32_e32 v13, s9
	s_waitcnt vmcnt(0)
	v_readfirstlane_b32 s10, v2
	v_readfirstlane_b32 s11, v3
	s_and_b64 s[10:11], s[10:11], s[8:9]
	s_mul_i32 s11, s11, 24
	s_mul_hi_u32 s15, s10, 24
	s_mul_i32 s10, s10, 24
	s_add_i32 s15, s15, s11
	v_add_co_u32 v10, vcc_lo, v22, s10
	v_add_co_ci_u32_e32 v11, vcc_lo, s15, v23, vcc_lo
	s_mov_b32 s10, exec_lo
	global_store_dwordx2 v[10:11], v[14:15], off
	s_waitcnt_vscnt null, 0x0
	global_atomic_cmpswap_x2 v[4:5], v7, v[12:15], s[6:7] offset:32 glc
	s_waitcnt vmcnt(0)
	v_cmpx_ne_u64_e64 v[4:5], v[14:15]
	s_cbranch_execz .LBB0_231
; %bb.229:                              ;   in Loop: Header=BB0_163 Depth=1
	s_mov_b32 s11, 0
.LBB0_230:                              ;   Parent Loop BB0_163 Depth=1
                                        ; =>  This Inner Loop Header: Depth=2
	v_mov_b32_e32 v2, s8
	v_mov_b32_e32 v3, s9
	s_sleep 1
	global_store_dwordx2 v[10:11], v[4:5], off
	s_waitcnt_vscnt null, 0x0
	global_atomic_cmpswap_x2 v[2:3], v7, v[2:5], s[6:7] offset:32 glc
	s_waitcnt vmcnt(0)
	v_cmp_eq_u64_e32 vcc_lo, v[2:3], v[4:5]
	v_mov_b32_e32 v5, v3
	v_mov_b32_e32 v4, v2
	s_or_b32 s11, vcc_lo, s11
	s_andn2_b32 exec_lo, exec_lo, s11
	s_cbranch_execnz .LBB0_230
.LBB0_231:                              ;   in Loop: Header=BB0_163 Depth=1
	s_or_b32 exec_lo, exec_lo, s10
	global_load_dwordx2 v[2:3], v7, s[6:7] offset:16
	s_mov_b32 s11, exec_lo
	s_mov_b32 s10, exec_lo
	v_mbcnt_lo_u32_b32 v4, s11, 0
	v_cmpx_eq_u32_e32 0, v4
	s_cbranch_execz .LBB0_233
; %bb.232:                              ;   in Loop: Header=BB0_163 Depth=1
	s_bcnt1_i32_b32 s11, s11
	v_mov_b32_e32 v6, s11
	s_waitcnt vmcnt(0)
	global_atomic_add_x2 v[2:3], v[6:7], off offset:8
.LBB0_233:                              ;   in Loop: Header=BB0_163 Depth=1
	s_or_b32 exec_lo, exec_lo, s10
	s_waitcnt vmcnt(0)
	global_load_dwordx2 v[4:5], v[2:3], off offset:16
	s_waitcnt vmcnt(0)
	v_cmp_eq_u64_e32 vcc_lo, 0, v[4:5]
	s_cbranch_vccnz .LBB0_235
; %bb.234:                              ;   in Loop: Header=BB0_163 Depth=1
	global_load_dword v6, v[2:3], off offset:24
	s_waitcnt vmcnt(0)
	v_and_b32_e32 v2, 0x7fffff, v6
	s_waitcnt_vscnt null, 0x0
	global_store_dwordx2 v[4:5], v[6:7], off
	v_readfirstlane_b32 m0, v2
	s_sendmsg sendmsg(MSG_INTERRUPT)
.LBB0_235:                              ;   in Loop: Header=BB0_163 Depth=1
	s_or_b32 exec_lo, exec_lo, s5
	v_add_co_u32 v2, vcc_lo, v24, v32
	v_add_co_ci_u32_e32 v3, vcc_lo, 0, v25, vcc_lo
	s_branch .LBB0_239
	.p2align	6
.LBB0_236:                              ;   in Loop: Header=BB0_239 Depth=2
	s_or_b32 exec_lo, exec_lo, s5
	v_readfirstlane_b32 s5, v4
	s_cmp_eq_u32 s5, 0
	s_cbranch_scc1 .LBB0_238
; %bb.237:                              ;   in Loop: Header=BB0_239 Depth=2
	s_sleep 1
	s_cbranch_execnz .LBB0_239
	s_branch .LBB0_241
	.p2align	6
.LBB0_238:                              ;   in Loop: Header=BB0_163 Depth=1
	s_branch .LBB0_241
.LBB0_239:                              ;   Parent Loop BB0_163 Depth=1
                                        ; =>  This Inner Loop Header: Depth=2
	v_mov_b32_e32 v4, 1
	s_and_saveexec_b32 s5, s4
	s_cbranch_execz .LBB0_236
; %bb.240:                              ;   in Loop: Header=BB0_239 Depth=2
	global_load_dword v4, v[30:31], off offset:20 glc dlc
	s_waitcnt vmcnt(0)
	buffer_gl1_inv
	buffer_gl0_inv
	v_and_b32_e32 v4, 1, v4
	s_branch .LBB0_236
.LBB0_241:                              ;   in Loop: Header=BB0_163 Depth=1
	global_load_dwordx4 v[2:5], v[2:3], off
	s_and_saveexec_b32 s5, s4
	s_cbranch_execz .LBB0_162
; %bb.242:                              ;   in Loop: Header=BB0_163 Depth=1
	s_clause 0x2
	global_load_dwordx2 v[4:5], v7, s[6:7] offset:40
	global_load_dwordx2 v[14:15], v7, s[6:7] offset:24 glc dlc
	global_load_dwordx2 v[12:13], v7, s[6:7]
	s_waitcnt vmcnt(2)
	v_add_co_u32 v6, vcc_lo, v4, 1
	v_add_co_ci_u32_e32 v16, vcc_lo, 0, v5, vcc_lo
	v_add_co_u32 v10, vcc_lo, v6, s8
	v_add_co_ci_u32_e32 v11, vcc_lo, s9, v16, vcc_lo
	v_cmp_eq_u64_e32 vcc_lo, 0, v[10:11]
	v_cndmask_b32_e32 v11, v11, v16, vcc_lo
	v_cndmask_b32_e32 v10, v10, v6, vcc_lo
	v_and_b32_e32 v5, v11, v5
	v_and_b32_e32 v4, v10, v4
	v_mul_lo_u32 v5, v5, 24
	v_mul_hi_u32 v6, v4, 24
	v_mul_lo_u32 v4, v4, 24
	v_add_nc_u32_e32 v5, v6, v5
	s_waitcnt vmcnt(0)
	v_add_co_u32 v4, vcc_lo, v12, v4
	v_mov_b32_e32 v12, v14
	v_add_co_ci_u32_e32 v5, vcc_lo, v13, v5, vcc_lo
	v_mov_b32_e32 v13, v15
	global_store_dwordx2 v[4:5], v[14:15], off
	s_waitcnt_vscnt null, 0x0
	global_atomic_cmpswap_x2 v[12:13], v7, v[10:13], s[6:7] offset:24 glc
	s_waitcnt vmcnt(0)
	v_cmp_ne_u64_e32 vcc_lo, v[12:13], v[14:15]
	s_and_b32 exec_lo, exec_lo, vcc_lo
	s_cbranch_execz .LBB0_162
; %bb.243:                              ;   in Loop: Header=BB0_163 Depth=1
	s_mov_b32 s4, 0
.LBB0_244:                              ;   Parent Loop BB0_163 Depth=1
                                        ; =>  This Inner Loop Header: Depth=2
	s_sleep 1
	global_store_dwordx2 v[4:5], v[12:13], off
	s_waitcnt_vscnt null, 0x0
	global_atomic_cmpswap_x2 v[14:15], v7, v[10:13], s[6:7] offset:24 glc
	s_waitcnt vmcnt(0)
	v_cmp_eq_u64_e32 vcc_lo, v[14:15], v[12:13]
	v_mov_b32_e32 v12, v14
	v_mov_b32_e32 v13, v15
	s_or_b32 s4, vcc_lo, s4
	s_andn2_b32 exec_lo, exec_lo, s4
	s_cbranch_execnz .LBB0_244
	s_branch .LBB0_162
.LBB0_245:
	s_and_saveexec_b32 s10, s4
	s_cbranch_execz .LBB0_249
; %bb.246:
	v_mov_b32_e32 v6, 0
	s_clause 0x2
	global_load_dwordx2 v[2:3], v6, s[6:7] offset:40
	global_load_dwordx2 v[7:8], v6, s[6:7] offset:24 glc dlc
	global_load_dwordx2 v[4:5], v6, s[6:7]
	s_waitcnt vmcnt(2)
	v_add_co_u32 v9, vcc_lo, v2, 1
	v_add_co_ci_u32_e32 v10, vcc_lo, 0, v3, vcc_lo
	v_add_co_u32 v0, vcc_lo, v9, s8
	v_add_co_ci_u32_e32 v1, vcc_lo, s9, v10, vcc_lo
	v_cmp_eq_u64_e32 vcc_lo, 0, v[0:1]
	v_cndmask_b32_e32 v1, v1, v10, vcc_lo
	v_cndmask_b32_e32 v0, v0, v9, vcc_lo
	v_and_b32_e32 v3, v1, v3
	v_and_b32_e32 v2, v0, v2
	v_mul_lo_u32 v3, v3, 24
	v_mul_hi_u32 v9, v2, 24
	v_mul_lo_u32 v2, v2, 24
	v_add_nc_u32_e32 v3, v9, v3
	s_waitcnt vmcnt(0)
	v_add_co_u32 v4, vcc_lo, v4, v2
	v_mov_b32_e32 v2, v7
	v_add_co_ci_u32_e32 v5, vcc_lo, v5, v3, vcc_lo
	v_mov_b32_e32 v3, v8
	global_store_dwordx2 v[4:5], v[7:8], off
	s_waitcnt_vscnt null, 0x0
	global_atomic_cmpswap_x2 v[2:3], v6, v[0:3], s[6:7] offset:24 glc
	s_waitcnt vmcnt(0)
	v_cmp_ne_u64_e32 vcc_lo, v[2:3], v[7:8]
	s_and_b32 exec_lo, exec_lo, vcc_lo
	s_cbranch_execz .LBB0_249
; %bb.247:
	s_mov_b32 s4, 0
.LBB0_248:                              ; =>This Inner Loop Header: Depth=1
	s_sleep 1
	global_store_dwordx2 v[4:5], v[2:3], off
	s_waitcnt_vscnt null, 0x0
	global_atomic_cmpswap_x2 v[7:8], v6, v[0:3], s[6:7] offset:24 glc
	s_waitcnt vmcnt(0)
	v_cmp_eq_u64_e32 vcc_lo, v[7:8], v[2:3]
	v_mov_b32_e32 v2, v7
	v_mov_b32_e32 v3, v8
	s_or_b32 s4, vcc_lo, s4
	s_andn2_b32 exec_lo, exec_lo, s4
	s_cbranch_execnz .LBB0_248
.LBB0_249:
	s_or_b32 exec_lo, exec_lo, s10
	s_or_b32 exec_lo, exec_lo, s5
	s_waitcnt lgkmcnt(0)
	s_setpc_b64 s[30:31]
.LBB0_250:
	s_or_b32 exec_lo, exec_lo, s13
                                        ; implicit-def: $vgpr2_vgpr3
                                        ; implicit-def: $vgpr32
                                        ; implicit-def: $vgpr33
	s_andn2_saveexec_b32 s5, s12
	s_cbranch_execnz .LBB0_136
.LBB0_251:
	s_or_b32 exec_lo, exec_lo, s5
	s_waitcnt vmcnt(0) lgkmcnt(0)
	s_setpc_b64 s[30:31]
.Lfunc_end0:
	.size	_ZNK8migraphx13basic_printerIZNS_4coutEvEUlT_E_ElsEPKc, .Lfunc_end0-_ZNK8migraphx13basic_printerIZNS_4coutEvEUlT_E_ElsEPKc
                                        ; -- End function
	.section	.AMDGPU.csdata,"",@progbits
; Function info:
; codeLenInByte = 9188
; NumSgprs: 34
; NumVgprs: 36
; ScratchSize: 0
; MemoryBound: 0
	.text
	.p2align	2                               ; -- Begin function _ZN8migraphx4testlsIKNS_13basic_printerIZNS_4coutEvEUlT_E_EEEERS3_S7_RKNS0_10expressionINS0_14lhs_expressionIRiNS0_3nopEEEiNS0_5equalEEE
	.type	_ZN8migraphx4testlsIKNS_13basic_printerIZNS_4coutEvEUlT_E_EEEERS3_S7_RKNS0_10expressionINS0_14lhs_expressionIRiNS0_3nopEEEiNS0_5equalEEE,@function
_ZN8migraphx4testlsIKNS_13basic_printerIZNS_4coutEvEUlT_E_EEEERS3_S7_RKNS0_10expressionINS0_14lhs_expressionIRiNS0_3nopEEEiNS0_5equalEEE: ; @_ZN8migraphx4testlsIKNS_13basic_printerIZNS_4coutEvEUlT_E_EEEERS3_S7_RKNS0_10expressionINS0_14lhs_expressionIRiNS0_3nopEEEiNS0_5equalEEE
; %bb.0:
	s_waitcnt vmcnt(0) expcnt(0) lgkmcnt(0)
	s_mov_b32 s27, s33
	s_mov_b32 s33, s32
	s_or_saveexec_b32 s4, -1
	buffer_store_dword v40, off, s[0:3], s33 ; 4-byte Folded Spill
	s_mov_b32 exec_lo, s4
	s_addk_i32 s32, 0x200
	v_writelane_b32 v40, s34, 0
	v_writelane_b32 v40, s35, 1
	;; [unrolled: 1-line block ×4, first 2 shown]
	v_mov_b32_e32 v37, v1
	v_mov_b32_e32 v36, v0
	s_load_dwordx2 s[24:25], s[8:9], 0x50
	v_mbcnt_lo_u32_b32 v39, -1, 0
	v_mov_b32_e32 v6, 0
	v_mov_b32_e32 v7, 0
	flat_load_dwordx2 v[0:1], v[36:37]
	s_mov_b64 s[22:23], s[8:9]
	v_readfirstlane_b32 s4, v39
	v_cmp_eq_u32_e64 s4, s4, v39
	s_waitcnt vmcnt(0) lgkmcnt(0)
	flat_load_dword v31, v[0:1]
	s_and_saveexec_b32 s5, s4
	s_cbranch_execz .LBB1_6
; %bb.1:
	v_mov_b32_e32 v0, 0
	s_mov_b32 s6, exec_lo
	global_load_dwordx2 v[3:4], v0, s[24:25] offset:24 glc dlc
	s_waitcnt vmcnt(0)
	buffer_gl1_inv
	buffer_gl0_inv
	s_clause 0x1
	global_load_dwordx2 v[1:2], v0, s[24:25] offset:40
	global_load_dwordx2 v[5:6], v0, s[24:25]
	s_waitcnt vmcnt(1)
	v_and_b32_e32 v2, v2, v4
	v_and_b32_e32 v1, v1, v3
	v_mul_lo_u32 v2, v2, 24
	v_mul_hi_u32 v7, v1, 24
	v_mul_lo_u32 v1, v1, 24
	v_add_nc_u32_e32 v2, v7, v2
	s_waitcnt vmcnt(0)
	v_add_co_u32 v1, vcc_lo, v5, v1
	v_add_co_ci_u32_e32 v2, vcc_lo, v6, v2, vcc_lo
	global_load_dwordx2 v[1:2], v[1:2], off glc dlc
	s_waitcnt vmcnt(0)
	global_atomic_cmpswap_x2 v[6:7], v0, v[1:4], s[24:25] offset:24 glc
	s_waitcnt vmcnt(0)
	buffer_gl1_inv
	buffer_gl0_inv
	v_cmpx_ne_u64_e64 v[6:7], v[3:4]
	s_cbranch_execz .LBB1_5
; %bb.2:
	s_mov_b32 s7, 0
	.p2align	6
.LBB1_3:                                ; =>This Inner Loop Header: Depth=1
	s_sleep 1
	s_clause 0x1
	global_load_dwordx2 v[1:2], v0, s[24:25] offset:40
	global_load_dwordx2 v[8:9], v0, s[24:25]
	v_mov_b32_e32 v3, v6
	v_mov_b32_e32 v4, v7
	s_waitcnt vmcnt(1)
	v_and_b32_e32 v1, v1, v3
	v_and_b32_e32 v2, v2, v4
	s_waitcnt vmcnt(0)
	v_mad_u64_u32 v[5:6], null, v1, 24, v[8:9]
	v_mov_b32_e32 v1, v6
	v_mad_u64_u32 v[1:2], null, v2, 24, v[1:2]
	v_mov_b32_e32 v6, v1
	global_load_dwordx2 v[1:2], v[5:6], off glc dlc
	s_waitcnt vmcnt(0)
	global_atomic_cmpswap_x2 v[6:7], v0, v[1:4], s[24:25] offset:24 glc
	s_waitcnt vmcnt(0)
	buffer_gl1_inv
	buffer_gl0_inv
	v_cmp_eq_u64_e32 vcc_lo, v[6:7], v[3:4]
	s_or_b32 s7, vcc_lo, s7
	s_andn2_b32 exec_lo, exec_lo, s7
	s_cbranch_execnz .LBB1_3
; %bb.4:
	s_or_b32 exec_lo, exec_lo, s7
.LBB1_5:
	s_or_b32 exec_lo, exec_lo, s6
.LBB1_6:
	s_or_b32 exec_lo, exec_lo, s5
	v_mov_b32_e32 v5, 0
	v_readfirstlane_b32 s6, v6
	v_readfirstlane_b32 s7, v7
	s_mov_b32 s5, exec_lo
	s_clause 0x1
	global_load_dwordx2 v[8:9], v5, s[24:25] offset:40
	global_load_dwordx4 v[0:3], v5, s[24:25]
	s_waitcnt vmcnt(1)
	v_readfirstlane_b32 s10, v8
	v_readfirstlane_b32 s11, v9
	s_and_b64 s[10:11], s[6:7], s[10:11]
	s_mul_i32 s12, s11, 24
	s_mul_hi_u32 s13, s10, 24
	s_mul_i32 s14, s10, 24
	s_add_i32 s13, s13, s12
	s_waitcnt vmcnt(0)
	v_add_co_u32 v8, vcc_lo, v0, s14
	v_add_co_ci_u32_e32 v9, vcc_lo, s13, v1, vcc_lo
	s_and_saveexec_b32 s12, s4
	s_cbranch_execz .LBB1_8
; %bb.7:
	v_mov_b32_e32 v4, s5
	v_mov_b32_e32 v6, 2
	;; [unrolled: 1-line block ×3, first 2 shown]
	global_store_dwordx4 v[8:9], v[4:7], off offset:8
.LBB1_8:
	s_or_b32 exec_lo, exec_lo, s12
	s_lshl_b64 s[10:11], s[10:11], 12
	v_lshlrev_b32_e32 v38, 6, v39
	v_add_co_u32 v2, vcc_lo, v2, s10
	v_add_co_ci_u32_e32 v3, vcc_lo, s11, v3, vcc_lo
	s_mov_b32 s12, 0
	v_add_co_u32 v10, vcc_lo, v2, v38
	s_mov_b32 s13, s12
	s_mov_b32 s14, s12
	;; [unrolled: 1-line block ×3, first 2 shown]
	v_mov_b32_e32 v4, 33
	v_mov_b32_e32 v6, v5
	v_mov_b32_e32 v7, v5
	v_readfirstlane_b32 s10, v2
	v_readfirstlane_b32 s11, v3
	v_mov_b32_e32 v12, s12
	v_add_co_ci_u32_e32 v11, vcc_lo, 0, v3, vcc_lo
	v_mov_b32_e32 v13, s13
	v_mov_b32_e32 v14, s14
	;; [unrolled: 1-line block ×3, first 2 shown]
	global_store_dwordx4 v38, v[4:7], s[10:11]
	global_store_dwordx4 v38, v[12:15], s[10:11] offset:16
	global_store_dwordx4 v38, v[12:15], s[10:11] offset:32
	;; [unrolled: 1-line block ×3, first 2 shown]
	s_and_saveexec_b32 s5, s4
	s_cbranch_execz .LBB1_16
; %bb.9:
	v_mov_b32_e32 v6, 0
	v_mov_b32_e32 v12, s6
	;; [unrolled: 1-line block ×3, first 2 shown]
	s_mov_b32 s10, exec_lo
	s_clause 0x1
	global_load_dwordx2 v[14:15], v6, s[24:25] offset:32 glc dlc
	global_load_dwordx2 v[2:3], v6, s[24:25] offset:40
	s_waitcnt vmcnt(0)
	v_and_b32_e32 v3, s7, v3
	v_and_b32_e32 v2, s6, v2
	v_mul_lo_u32 v3, v3, 24
	v_mul_hi_u32 v4, v2, 24
	v_mul_lo_u32 v2, v2, 24
	v_add_nc_u32_e32 v3, v4, v3
	v_add_co_u32 v4, vcc_lo, v0, v2
	v_add_co_ci_u32_e32 v5, vcc_lo, v1, v3, vcc_lo
	global_store_dwordx2 v[4:5], v[14:15], off
	s_waitcnt_vscnt null, 0x0
	global_atomic_cmpswap_x2 v[2:3], v6, v[12:15], s[24:25] offset:32 glc
	s_waitcnt vmcnt(0)
	v_cmpx_ne_u64_e64 v[2:3], v[14:15]
	s_cbranch_execz .LBB1_12
; %bb.10:
	s_mov_b32 s11, 0
.LBB1_11:                               ; =>This Inner Loop Header: Depth=1
	v_mov_b32_e32 v0, s6
	v_mov_b32_e32 v1, s7
	s_sleep 1
	global_store_dwordx2 v[4:5], v[2:3], off
	s_waitcnt_vscnt null, 0x0
	global_atomic_cmpswap_x2 v[0:1], v6, v[0:3], s[24:25] offset:32 glc
	s_waitcnt vmcnt(0)
	v_cmp_eq_u64_e32 vcc_lo, v[0:1], v[2:3]
	v_mov_b32_e32 v3, v1
	v_mov_b32_e32 v2, v0
	s_or_b32 s11, vcc_lo, s11
	s_andn2_b32 exec_lo, exec_lo, s11
	s_cbranch_execnz .LBB1_11
.LBB1_12:
	s_or_b32 exec_lo, exec_lo, s10
	v_mov_b32_e32 v3, 0
	s_mov_b32 s11, exec_lo
	s_mov_b32 s10, exec_lo
	v_mbcnt_lo_u32_b32 v2, s11, 0
	global_load_dwordx2 v[0:1], v3, s[24:25] offset:16
	v_cmpx_eq_u32_e32 0, v2
	s_cbranch_execz .LBB1_14
; %bb.13:
	s_bcnt1_i32_b32 s11, s11
	v_mov_b32_e32 v2, s11
	s_waitcnt vmcnt(0)
	global_atomic_add_x2 v[0:1], v[2:3], off offset:8
.LBB1_14:
	s_or_b32 exec_lo, exec_lo, s10
	s_waitcnt vmcnt(0)
	global_load_dwordx2 v[2:3], v[0:1], off offset:16
	s_waitcnt vmcnt(0)
	v_cmp_eq_u64_e32 vcc_lo, 0, v[2:3]
	s_cbranch_vccnz .LBB1_16
; %bb.15:
	global_load_dword v0, v[0:1], off offset:24
	v_mov_b32_e32 v1, 0
	s_waitcnt vmcnt(0)
	v_and_b32_e32 v4, 0x7fffff, v0
	s_waitcnt_vscnt null, 0x0
	global_store_dwordx2 v[2:3], v[0:1], off
	v_readfirstlane_b32 m0, v4
	s_sendmsg sendmsg(MSG_INTERRUPT)
.LBB1_16:
	s_or_b32 exec_lo, exec_lo, s5
	s_branch .LBB1_20
	.p2align	6
.LBB1_17:                               ;   in Loop: Header=BB1_20 Depth=1
	s_or_b32 exec_lo, exec_lo, s5
	v_readfirstlane_b32 s5, v0
	s_cmp_eq_u32 s5, 0
	s_cbranch_scc1 .LBB1_19
; %bb.18:                               ;   in Loop: Header=BB1_20 Depth=1
	s_sleep 1
	s_cbranch_execnz .LBB1_20
	s_branch .LBB1_22
	.p2align	6
.LBB1_19:
	s_branch .LBB1_22
.LBB1_20:                               ; =>This Inner Loop Header: Depth=1
	v_mov_b32_e32 v0, 1
	s_and_saveexec_b32 s5, s4
	s_cbranch_execz .LBB1_17
; %bb.21:                               ;   in Loop: Header=BB1_20 Depth=1
	global_load_dword v0, v[8:9], off offset:20 glc dlc
	s_waitcnt vmcnt(0)
	buffer_gl1_inv
	buffer_gl0_inv
	v_and_b32_e32 v0, 1, v0
	s_branch .LBB1_17
.LBB1_22:
	global_load_dwordx2 v[0:1], v[10:11], off
	s_and_saveexec_b32 s5, s4
	s_cbranch_execz .LBB1_26
; %bb.23:
	v_mov_b32_e32 v8, 0
	s_clause 0x2
	global_load_dwordx2 v[4:5], v8, s[24:25] offset:40
	global_load_dwordx2 v[9:10], v8, s[24:25] offset:24 glc dlc
	global_load_dwordx2 v[6:7], v8, s[24:25]
	s_waitcnt vmcnt(2)
	v_add_co_u32 v11, vcc_lo, v4, 1
	v_add_co_ci_u32_e32 v12, vcc_lo, 0, v5, vcc_lo
	v_add_co_u32 v2, vcc_lo, v11, s6
	v_add_co_ci_u32_e32 v3, vcc_lo, s7, v12, vcc_lo
	v_cmp_eq_u64_e32 vcc_lo, 0, v[2:3]
	v_cndmask_b32_e32 v3, v3, v12, vcc_lo
	v_cndmask_b32_e32 v2, v2, v11, vcc_lo
	v_and_b32_e32 v5, v3, v5
	v_and_b32_e32 v4, v2, v4
	v_mul_lo_u32 v5, v5, 24
	v_mul_hi_u32 v11, v4, 24
	v_mul_lo_u32 v4, v4, 24
	v_add_nc_u32_e32 v5, v11, v5
	s_waitcnt vmcnt(0)
	v_add_co_u32 v6, vcc_lo, v6, v4
	v_mov_b32_e32 v4, v9
	v_add_co_ci_u32_e32 v7, vcc_lo, v7, v5, vcc_lo
	v_mov_b32_e32 v5, v10
	global_store_dwordx2 v[6:7], v[9:10], off
	s_waitcnt_vscnt null, 0x0
	global_atomic_cmpswap_x2 v[4:5], v8, v[2:5], s[24:25] offset:24 glc
	s_waitcnt vmcnt(0)
	v_cmp_ne_u64_e32 vcc_lo, v[4:5], v[9:10]
	s_and_b32 exec_lo, exec_lo, vcc_lo
	s_cbranch_execz .LBB1_26
; %bb.24:
	s_mov_b32 s4, 0
.LBB1_25:                               ; =>This Inner Loop Header: Depth=1
	s_sleep 1
	global_store_dwordx2 v[6:7], v[4:5], off
	s_waitcnt_vscnt null, 0x0
	global_atomic_cmpswap_x2 v[9:10], v8, v[2:5], s[24:25] offset:24 glc
	s_waitcnt vmcnt(0)
	v_cmp_eq_u64_e32 vcc_lo, v[9:10], v[4:5]
	v_mov_b32_e32 v4, v9
	v_mov_b32_e32 v5, v10
	s_or_b32 s4, vcc_lo, s4
	s_andn2_b32 exec_lo, exec_lo, s4
	s_cbranch_execnz .LBB1_25
.LBB1_26:
	s_or_b32 exec_lo, exec_lo, s5
	s_getpc_b64 s[6:7]
	s_add_u32 s6, s6, .str.10@rel32@lo+4
	s_addc_u32 s7, s7, .str.10@rel32@hi+12
	s_cmp_lg_u64 s[6:7], 0
	s_cselect_b32 s26, -1, 0
	s_and_b32 vcc_lo, exec_lo, s26
	s_cbranch_vccz .LBB1_105
; %bb.27:
	s_waitcnt vmcnt(0)
	v_and_b32_e32 v32, 2, v0
	v_mov_b32_e32 v6, 0
	v_and_b32_e32 v2, -3, v0
	v_mov_b32_e32 v3, v1
	v_mov_b32_e32 v7, 2
	;; [unrolled: 1-line block ×3, first 2 shown]
	s_mov_b64 s[10:11], 4
	s_branch .LBB1_29
.LBB1_28:                               ;   in Loop: Header=BB1_29 Depth=1
	s_or_b32 exec_lo, exec_lo, s5
	s_sub_u32 s10, s10, s12
	s_subb_u32 s11, s11, s13
	s_add_u32 s6, s6, s12
	s_addc_u32 s7, s7, s13
	s_cmp_lg_u64 s[10:11], 0
	s_cbranch_scc0 .LBB1_104
.LBB1_29:                               ; =>This Loop Header: Depth=1
                                        ;     Child Loop BB1_38 Depth 2
                                        ;     Child Loop BB1_34 Depth 2
	;; [unrolled: 1-line block ×11, first 2 shown]
	v_cmp_lt_u64_e64 s4, s[10:11], 56
	v_cmp_gt_u64_e64 s5, s[10:11], 7
                                        ; implicit-def: $vgpr11_vgpr12
                                        ; implicit-def: $sgpr18
	s_and_b32 s4, s4, exec_lo
	s_cselect_b32 s13, s11, 0
	s_cselect_b32 s12, s10, 56
	s_and_b32 vcc_lo, exec_lo, s5
	s_mov_b32 s4, -1
	s_cbranch_vccz .LBB1_36
; %bb.30:                               ;   in Loop: Header=BB1_29 Depth=1
	s_andn2_b32 vcc_lo, exec_lo, s4
	s_mov_b64 s[4:5], s[6:7]
	s_cbranch_vccz .LBB1_40
.LBB1_31:                               ;   in Loop: Header=BB1_29 Depth=1
	s_cmp_gt_u32 s18, 7
	s_cbranch_scc1 .LBB1_41
.LBB1_32:                               ;   in Loop: Header=BB1_29 Depth=1
	v_mov_b32_e32 v13, 0
	v_mov_b32_e32 v14, 0
	s_cmp_eq_u32 s18, 0
	s_cbranch_scc1 .LBB1_35
; %bb.33:                               ;   in Loop: Header=BB1_29 Depth=1
	s_mov_b64 s[14:15], 0
	s_mov_b64 s[16:17], 0
.LBB1_34:                               ;   Parent Loop BB1_29 Depth=1
                                        ; =>  This Inner Loop Header: Depth=2
	s_add_u32 s20, s4, s16
	s_addc_u32 s21, s5, s17
	s_add_u32 s16, s16, 1
	global_load_ubyte v4, v6, s[20:21]
	s_addc_u32 s17, s17, 0
	s_waitcnt vmcnt(0)
	v_and_b32_e32 v5, 0xffff, v4
	v_lshlrev_b64 v[4:5], s14, v[5:6]
	s_add_u32 s14, s14, 8
	s_addc_u32 s15, s15, 0
	s_cmp_lg_u32 s18, s16
	v_or_b32_e32 v13, v4, v13
	v_or_b32_e32 v14, v5, v14
	s_cbranch_scc1 .LBB1_34
.LBB1_35:                               ;   in Loop: Header=BB1_29 Depth=1
	s_mov_b32 s19, 0
	s_cbranch_execz .LBB1_42
	s_branch .LBB1_43
.LBB1_36:                               ;   in Loop: Header=BB1_29 Depth=1
	v_mov_b32_e32 v11, 0
	v_mov_b32_e32 v12, 0
	s_cmp_eq_u64 s[10:11], 0
	s_mov_b64 s[4:5], 0
	s_cbranch_scc1 .LBB1_39
; %bb.37:                               ;   in Loop: Header=BB1_29 Depth=1
	v_mov_b32_e32 v11, 0
	v_mov_b32_e32 v12, 0
	s_lshl_b64 s[14:15], s[12:13], 3
	s_mov_b64 s[16:17], s[6:7]
.LBB1_38:                               ;   Parent Loop BB1_29 Depth=1
                                        ; =>  This Inner Loop Header: Depth=2
	global_load_ubyte v4, v6, s[16:17]
	s_waitcnt vmcnt(0)
	v_and_b32_e32 v5, 0xffff, v4
	v_lshlrev_b64 v[4:5], s4, v[5:6]
	s_add_u32 s4, s4, 8
	s_addc_u32 s5, s5, 0
	s_add_u32 s16, s16, 1
	s_addc_u32 s17, s17, 0
	s_cmp_lg_u32 s14, s4
	v_or_b32_e32 v11, v4, v11
	v_or_b32_e32 v12, v5, v12
	s_cbranch_scc1 .LBB1_38
.LBB1_39:                               ;   in Loop: Header=BB1_29 Depth=1
	s_mov_b32 s18, 0
	s_mov_b64 s[4:5], s[6:7]
	s_cbranch_execnz .LBB1_31
.LBB1_40:                               ;   in Loop: Header=BB1_29 Depth=1
	global_load_dwordx2 v[11:12], v6, s[6:7]
	s_add_i32 s18, s12, -8
	s_add_u32 s4, s6, 8
	s_addc_u32 s5, s7, 0
	s_cmp_gt_u32 s18, 7
	s_cbranch_scc0 .LBB1_32
.LBB1_41:                               ;   in Loop: Header=BB1_29 Depth=1
                                        ; implicit-def: $vgpr13_vgpr14
                                        ; implicit-def: $sgpr19
.LBB1_42:                               ;   in Loop: Header=BB1_29 Depth=1
	global_load_dwordx2 v[13:14], v6, s[4:5]
	s_add_i32 s19, s18, -8
	s_add_u32 s4, s4, 8
	s_addc_u32 s5, s5, 0
.LBB1_43:                               ;   in Loop: Header=BB1_29 Depth=1
	s_cmp_gt_u32 s19, 7
	s_cbranch_scc1 .LBB1_48
; %bb.44:                               ;   in Loop: Header=BB1_29 Depth=1
	v_mov_b32_e32 v15, 0
	v_mov_b32_e32 v16, 0
	s_cmp_eq_u32 s19, 0
	s_cbranch_scc1 .LBB1_47
; %bb.45:                               ;   in Loop: Header=BB1_29 Depth=1
	s_mov_b64 s[14:15], 0
	s_mov_b64 s[16:17], 0
.LBB1_46:                               ;   Parent Loop BB1_29 Depth=1
                                        ; =>  This Inner Loop Header: Depth=2
	s_add_u32 s20, s4, s16
	s_addc_u32 s21, s5, s17
	s_add_u32 s16, s16, 1
	global_load_ubyte v4, v6, s[20:21]
	s_addc_u32 s17, s17, 0
	s_waitcnt vmcnt(0)
	v_and_b32_e32 v5, 0xffff, v4
	v_lshlrev_b64 v[4:5], s14, v[5:6]
	s_add_u32 s14, s14, 8
	s_addc_u32 s15, s15, 0
	s_cmp_lg_u32 s19, s16
	v_or_b32_e32 v15, v4, v15
	v_or_b32_e32 v16, v5, v16
	s_cbranch_scc1 .LBB1_46
.LBB1_47:                               ;   in Loop: Header=BB1_29 Depth=1
	s_mov_b32 s18, 0
	s_cbranch_execz .LBB1_49
	s_branch .LBB1_50
.LBB1_48:                               ;   in Loop: Header=BB1_29 Depth=1
                                        ; implicit-def: $sgpr18
.LBB1_49:                               ;   in Loop: Header=BB1_29 Depth=1
	global_load_dwordx2 v[15:16], v6, s[4:5]
	s_add_i32 s18, s19, -8
	s_add_u32 s4, s4, 8
	s_addc_u32 s5, s5, 0
.LBB1_50:                               ;   in Loop: Header=BB1_29 Depth=1
	s_cmp_gt_u32 s18, 7
	s_cbranch_scc1 .LBB1_55
; %bb.51:                               ;   in Loop: Header=BB1_29 Depth=1
	v_mov_b32_e32 v17, 0
	v_mov_b32_e32 v18, 0
	s_cmp_eq_u32 s18, 0
	s_cbranch_scc1 .LBB1_54
; %bb.52:                               ;   in Loop: Header=BB1_29 Depth=1
	s_mov_b64 s[14:15], 0
	s_mov_b64 s[16:17], 0
.LBB1_53:                               ;   Parent Loop BB1_29 Depth=1
                                        ; =>  This Inner Loop Header: Depth=2
	s_add_u32 s20, s4, s16
	s_addc_u32 s21, s5, s17
	s_add_u32 s16, s16, 1
	global_load_ubyte v4, v6, s[20:21]
	s_addc_u32 s17, s17, 0
	s_waitcnt vmcnt(0)
	v_and_b32_e32 v5, 0xffff, v4
	v_lshlrev_b64 v[4:5], s14, v[5:6]
	s_add_u32 s14, s14, 8
	s_addc_u32 s15, s15, 0
	s_cmp_lg_u32 s18, s16
	v_or_b32_e32 v17, v4, v17
	v_or_b32_e32 v18, v5, v18
	s_cbranch_scc1 .LBB1_53
.LBB1_54:                               ;   in Loop: Header=BB1_29 Depth=1
	s_mov_b32 s19, 0
	s_cbranch_execz .LBB1_56
	s_branch .LBB1_57
.LBB1_55:                               ;   in Loop: Header=BB1_29 Depth=1
                                        ; implicit-def: $vgpr17_vgpr18
                                        ; implicit-def: $sgpr19
.LBB1_56:                               ;   in Loop: Header=BB1_29 Depth=1
	global_load_dwordx2 v[17:18], v6, s[4:5]
	s_add_i32 s19, s18, -8
	s_add_u32 s4, s4, 8
	s_addc_u32 s5, s5, 0
.LBB1_57:                               ;   in Loop: Header=BB1_29 Depth=1
	s_cmp_gt_u32 s19, 7
	s_cbranch_scc1 .LBB1_62
; %bb.58:                               ;   in Loop: Header=BB1_29 Depth=1
	v_mov_b32_e32 v19, 0
	v_mov_b32_e32 v20, 0
	s_cmp_eq_u32 s19, 0
	s_cbranch_scc1 .LBB1_61
; %bb.59:                               ;   in Loop: Header=BB1_29 Depth=1
	s_mov_b64 s[14:15], 0
	s_mov_b64 s[16:17], 0
.LBB1_60:                               ;   Parent Loop BB1_29 Depth=1
                                        ; =>  This Inner Loop Header: Depth=2
	s_add_u32 s20, s4, s16
	s_addc_u32 s21, s5, s17
	s_add_u32 s16, s16, 1
	global_load_ubyte v4, v6, s[20:21]
	s_addc_u32 s17, s17, 0
	s_waitcnt vmcnt(0)
	v_and_b32_e32 v5, 0xffff, v4
	v_lshlrev_b64 v[4:5], s14, v[5:6]
	s_add_u32 s14, s14, 8
	s_addc_u32 s15, s15, 0
	s_cmp_lg_u32 s19, s16
	v_or_b32_e32 v19, v4, v19
	v_or_b32_e32 v20, v5, v20
	s_cbranch_scc1 .LBB1_60
.LBB1_61:                               ;   in Loop: Header=BB1_29 Depth=1
	s_mov_b32 s18, 0
	s_cbranch_execz .LBB1_63
	s_branch .LBB1_64
.LBB1_62:                               ;   in Loop: Header=BB1_29 Depth=1
                                        ; implicit-def: $sgpr18
.LBB1_63:                               ;   in Loop: Header=BB1_29 Depth=1
	global_load_dwordx2 v[19:20], v6, s[4:5]
	s_add_i32 s18, s19, -8
	s_add_u32 s4, s4, 8
	s_addc_u32 s5, s5, 0
.LBB1_64:                               ;   in Loop: Header=BB1_29 Depth=1
	s_cmp_gt_u32 s18, 7
	s_cbranch_scc1 .LBB1_69
; %bb.65:                               ;   in Loop: Header=BB1_29 Depth=1
	v_mov_b32_e32 v21, 0
	v_mov_b32_e32 v22, 0
	s_cmp_eq_u32 s18, 0
	s_cbranch_scc1 .LBB1_68
; %bb.66:                               ;   in Loop: Header=BB1_29 Depth=1
	s_mov_b64 s[14:15], 0
	s_mov_b64 s[16:17], 0
.LBB1_67:                               ;   Parent Loop BB1_29 Depth=1
                                        ; =>  This Inner Loop Header: Depth=2
	s_add_u32 s20, s4, s16
	s_addc_u32 s21, s5, s17
	s_add_u32 s16, s16, 1
	global_load_ubyte v4, v6, s[20:21]
	s_addc_u32 s17, s17, 0
	s_waitcnt vmcnt(0)
	v_and_b32_e32 v5, 0xffff, v4
	v_lshlrev_b64 v[4:5], s14, v[5:6]
	s_add_u32 s14, s14, 8
	s_addc_u32 s15, s15, 0
	s_cmp_lg_u32 s18, s16
	v_or_b32_e32 v21, v4, v21
	v_or_b32_e32 v22, v5, v22
	s_cbranch_scc1 .LBB1_67
.LBB1_68:                               ;   in Loop: Header=BB1_29 Depth=1
	s_mov_b32 s19, 0
	s_cbranch_execz .LBB1_70
	s_branch .LBB1_71
.LBB1_69:                               ;   in Loop: Header=BB1_29 Depth=1
                                        ; implicit-def: $vgpr21_vgpr22
                                        ; implicit-def: $sgpr19
.LBB1_70:                               ;   in Loop: Header=BB1_29 Depth=1
	global_load_dwordx2 v[21:22], v6, s[4:5]
	s_add_i32 s19, s18, -8
	s_add_u32 s4, s4, 8
	s_addc_u32 s5, s5, 0
.LBB1_71:                               ;   in Loop: Header=BB1_29 Depth=1
	s_cmp_gt_u32 s19, 7
	s_cbranch_scc1 .LBB1_76
; %bb.72:                               ;   in Loop: Header=BB1_29 Depth=1
	v_mov_b32_e32 v23, 0
	v_mov_b32_e32 v24, 0
	s_cmp_eq_u32 s19, 0
	s_cbranch_scc1 .LBB1_75
; %bb.73:                               ;   in Loop: Header=BB1_29 Depth=1
	s_mov_b64 s[14:15], 0
	s_mov_b64 s[16:17], s[4:5]
.LBB1_74:                               ;   Parent Loop BB1_29 Depth=1
                                        ; =>  This Inner Loop Header: Depth=2
	global_load_ubyte v4, v6, s[16:17]
	s_add_i32 s19, s19, -1
	s_waitcnt vmcnt(0)
	v_and_b32_e32 v5, 0xffff, v4
	v_lshlrev_b64 v[4:5], s14, v[5:6]
	s_add_u32 s14, s14, 8
	s_addc_u32 s15, s15, 0
	s_add_u32 s16, s16, 1
	s_addc_u32 s17, s17, 0
	s_cmp_lg_u32 s19, 0
	v_or_b32_e32 v23, v4, v23
	v_or_b32_e32 v24, v5, v24
	s_cbranch_scc1 .LBB1_74
.LBB1_75:                               ;   in Loop: Header=BB1_29 Depth=1
	s_cbranch_execz .LBB1_77
	s_branch .LBB1_78
.LBB1_76:                               ;   in Loop: Header=BB1_29 Depth=1
.LBB1_77:                               ;   in Loop: Header=BB1_29 Depth=1
	global_load_dwordx2 v[23:24], v6, s[4:5]
.LBB1_78:                               ;   in Loop: Header=BB1_29 Depth=1
	v_readfirstlane_b32 s4, v39
	s_waitcnt vmcnt(0)
	v_mov_b32_e32 v4, 0
	v_mov_b32_e32 v5, 0
	v_cmp_eq_u32_e64 s4, s4, v39
	s_and_saveexec_b32 s5, s4
	s_cbranch_execz .LBB1_84
; %bb.79:                               ;   in Loop: Header=BB1_29 Depth=1
	global_load_dwordx2 v[27:28], v6, s[24:25] offset:24 glc dlc
	s_waitcnt vmcnt(0)
	buffer_gl1_inv
	buffer_gl0_inv
	s_clause 0x1
	global_load_dwordx2 v[4:5], v6, s[24:25] offset:40
	global_load_dwordx2 v[9:10], v6, s[24:25]
	s_mov_b32 s14, exec_lo
	s_waitcnt vmcnt(1)
	v_and_b32_e32 v5, v5, v28
	v_and_b32_e32 v4, v4, v27
	v_mul_lo_u32 v5, v5, 24
	v_mul_hi_u32 v25, v4, 24
	v_mul_lo_u32 v4, v4, 24
	v_add_nc_u32_e32 v5, v25, v5
	s_waitcnt vmcnt(0)
	v_add_co_u32 v4, vcc_lo, v9, v4
	v_add_co_ci_u32_e32 v5, vcc_lo, v10, v5, vcc_lo
	global_load_dwordx2 v[25:26], v[4:5], off glc dlc
	s_waitcnt vmcnt(0)
	global_atomic_cmpswap_x2 v[4:5], v6, v[25:28], s[24:25] offset:24 glc
	s_waitcnt vmcnt(0)
	buffer_gl1_inv
	buffer_gl0_inv
	v_cmpx_ne_u64_e64 v[4:5], v[27:28]
	s_cbranch_execz .LBB1_83
; %bb.80:                               ;   in Loop: Header=BB1_29 Depth=1
	s_mov_b32 s15, 0
	.p2align	6
.LBB1_81:                               ;   Parent Loop BB1_29 Depth=1
                                        ; =>  This Inner Loop Header: Depth=2
	s_sleep 1
	s_clause 0x1
	global_load_dwordx2 v[9:10], v6, s[24:25] offset:40
	global_load_dwordx2 v[25:26], v6, s[24:25]
	v_mov_b32_e32 v28, v5
	v_mov_b32_e32 v27, v4
	s_waitcnt vmcnt(1)
	v_and_b32_e32 v4, v9, v27
	v_and_b32_e32 v9, v10, v28
	s_waitcnt vmcnt(0)
	v_mad_u64_u32 v[4:5], null, v4, 24, v[25:26]
	v_mad_u64_u32 v[9:10], null, v9, 24, v[5:6]
	v_mov_b32_e32 v5, v9
	global_load_dwordx2 v[25:26], v[4:5], off glc dlc
	s_waitcnt vmcnt(0)
	global_atomic_cmpswap_x2 v[4:5], v6, v[25:28], s[24:25] offset:24 glc
	s_waitcnt vmcnt(0)
	buffer_gl1_inv
	buffer_gl0_inv
	v_cmp_eq_u64_e32 vcc_lo, v[4:5], v[27:28]
	s_or_b32 s15, vcc_lo, s15
	s_andn2_b32 exec_lo, exec_lo, s15
	s_cbranch_execnz .LBB1_81
; %bb.82:                               ;   in Loop: Header=BB1_29 Depth=1
	s_or_b32 exec_lo, exec_lo, s15
.LBB1_83:                               ;   in Loop: Header=BB1_29 Depth=1
	s_or_b32 exec_lo, exec_lo, s14
.LBB1_84:                               ;   in Loop: Header=BB1_29 Depth=1
	s_or_b32 exec_lo, exec_lo, s5
	s_clause 0x1
	global_load_dwordx2 v[9:10], v6, s[24:25] offset:40
	global_load_dwordx4 v[25:28], v6, s[24:25]
	v_readfirstlane_b32 s14, v4
	v_readfirstlane_b32 s15, v5
	s_mov_b32 s5, exec_lo
	s_waitcnt vmcnt(1)
	v_readfirstlane_b32 s16, v9
	v_readfirstlane_b32 s17, v10
	s_and_b64 s[16:17], s[14:15], s[16:17]
	s_mul_i32 s18, s17, 24
	s_mul_hi_u32 s19, s16, 24
	s_mul_i32 s20, s16, 24
	s_add_i32 s19, s19, s18
	s_waitcnt vmcnt(0)
	v_add_co_u32 v29, vcc_lo, v25, s20
	v_add_co_ci_u32_e32 v30, vcc_lo, s19, v26, vcc_lo
	s_and_saveexec_b32 s18, s4
	s_cbranch_execz .LBB1_86
; %bb.85:                               ;   in Loop: Header=BB1_29 Depth=1
	v_mov_b32_e32 v5, s5
	global_store_dwordx4 v[29:30], v[5:8], off offset:8
.LBB1_86:                               ;   in Loop: Header=BB1_29 Depth=1
	s_or_b32 exec_lo, exec_lo, s18
	s_lshl_b64 s[16:17], s[16:17], 12
	v_cmp_gt_u64_e64 vcc_lo, s[10:11], 56
	v_or_b32_e32 v5, v2, v32
	v_add_co_u32 v27, s5, v27, s16
	v_add_co_ci_u32_e64 v28, s5, s17, v28, s5
	s_lshl_b32 s5, s12, 2
	v_or_b32_e32 v4, 0, v3
	v_cndmask_b32_e32 v2, v5, v2, vcc_lo
	s_add_i32 s5, s5, 28
	v_readfirstlane_b32 s16, v27
	s_and_b32 s5, s5, 0x1e0
	v_cndmask_b32_e32 v10, v4, v3, vcc_lo
	v_readfirstlane_b32 s17, v28
	v_and_or_b32 v9, 0xffffff1f, v2, s5
	global_store_dwordx4 v38, v[9:12], s[16:17]
	global_store_dwordx4 v38, v[13:16], s[16:17] offset:16
	global_store_dwordx4 v38, v[17:20], s[16:17] offset:32
	;; [unrolled: 1-line block ×3, first 2 shown]
	s_and_saveexec_b32 s5, s4
	s_cbranch_execz .LBB1_94
; %bb.87:                               ;   in Loop: Header=BB1_29 Depth=1
	s_clause 0x1
	global_load_dwordx2 v[13:14], v6, s[24:25] offset:32 glc dlc
	global_load_dwordx2 v[2:3], v6, s[24:25] offset:40
	v_mov_b32_e32 v11, s14
	v_mov_b32_e32 v12, s15
	s_waitcnt vmcnt(0)
	v_readfirstlane_b32 s16, v2
	v_readfirstlane_b32 s17, v3
	s_and_b64 s[16:17], s[16:17], s[14:15]
	s_mul_i32 s17, s17, 24
	s_mul_hi_u32 s18, s16, 24
	s_mul_i32 s16, s16, 24
	s_add_i32 s18, s18, s17
	v_add_co_u32 v9, vcc_lo, v25, s16
	v_add_co_ci_u32_e32 v10, vcc_lo, s18, v26, vcc_lo
	s_mov_b32 s16, exec_lo
	global_store_dwordx2 v[9:10], v[13:14], off
	s_waitcnt_vscnt null, 0x0
	global_atomic_cmpswap_x2 v[4:5], v6, v[11:14], s[24:25] offset:32 glc
	s_waitcnt vmcnt(0)
	v_cmpx_ne_u64_e64 v[4:5], v[13:14]
	s_cbranch_execz .LBB1_90
; %bb.88:                               ;   in Loop: Header=BB1_29 Depth=1
	s_mov_b32 s17, 0
.LBB1_89:                               ;   Parent Loop BB1_29 Depth=1
                                        ; =>  This Inner Loop Header: Depth=2
	v_mov_b32_e32 v2, s14
	v_mov_b32_e32 v3, s15
	s_sleep 1
	global_store_dwordx2 v[9:10], v[4:5], off
	s_waitcnt_vscnt null, 0x0
	global_atomic_cmpswap_x2 v[2:3], v6, v[2:5], s[24:25] offset:32 glc
	s_waitcnt vmcnt(0)
	v_cmp_eq_u64_e32 vcc_lo, v[2:3], v[4:5]
	v_mov_b32_e32 v5, v3
	v_mov_b32_e32 v4, v2
	s_or_b32 s17, vcc_lo, s17
	s_andn2_b32 exec_lo, exec_lo, s17
	s_cbranch_execnz .LBB1_89
.LBB1_90:                               ;   in Loop: Header=BB1_29 Depth=1
	s_or_b32 exec_lo, exec_lo, s16
	global_load_dwordx2 v[2:3], v6, s[24:25] offset:16
	s_mov_b32 s17, exec_lo
	s_mov_b32 s16, exec_lo
	v_mbcnt_lo_u32_b32 v4, s17, 0
	v_cmpx_eq_u32_e32 0, v4
	s_cbranch_execz .LBB1_92
; %bb.91:                               ;   in Loop: Header=BB1_29 Depth=1
	s_bcnt1_i32_b32 s17, s17
	v_mov_b32_e32 v5, s17
	s_waitcnt vmcnt(0)
	global_atomic_add_x2 v[2:3], v[5:6], off offset:8
.LBB1_92:                               ;   in Loop: Header=BB1_29 Depth=1
	s_or_b32 exec_lo, exec_lo, s16
	s_waitcnt vmcnt(0)
	global_load_dwordx2 v[9:10], v[2:3], off offset:16
	s_waitcnt vmcnt(0)
	v_cmp_eq_u64_e32 vcc_lo, 0, v[9:10]
	s_cbranch_vccnz .LBB1_94
; %bb.93:                               ;   in Loop: Header=BB1_29 Depth=1
	global_load_dword v5, v[2:3], off offset:24
	s_waitcnt vmcnt(0)
	v_and_b32_e32 v2, 0x7fffff, v5
	s_waitcnt_vscnt null, 0x0
	global_store_dwordx2 v[9:10], v[5:6], off
	v_readfirstlane_b32 m0, v2
	s_sendmsg sendmsg(MSG_INTERRUPT)
.LBB1_94:                               ;   in Loop: Header=BB1_29 Depth=1
	s_or_b32 exec_lo, exec_lo, s5
	v_add_co_u32 v2, vcc_lo, v27, v38
	v_add_co_ci_u32_e32 v3, vcc_lo, 0, v28, vcc_lo
	s_branch .LBB1_98
	.p2align	6
.LBB1_95:                               ;   in Loop: Header=BB1_98 Depth=2
	s_or_b32 exec_lo, exec_lo, s5
	v_readfirstlane_b32 s5, v4
	s_cmp_eq_u32 s5, 0
	s_cbranch_scc1 .LBB1_97
; %bb.96:                               ;   in Loop: Header=BB1_98 Depth=2
	s_sleep 1
	s_cbranch_execnz .LBB1_98
	s_branch .LBB1_100
	.p2align	6
.LBB1_97:                               ;   in Loop: Header=BB1_29 Depth=1
	s_branch .LBB1_100
.LBB1_98:                               ;   Parent Loop BB1_29 Depth=1
                                        ; =>  This Inner Loop Header: Depth=2
	v_mov_b32_e32 v4, 1
	s_and_saveexec_b32 s5, s4
	s_cbranch_execz .LBB1_95
; %bb.99:                               ;   in Loop: Header=BB1_98 Depth=2
	global_load_dword v4, v[29:30], off offset:20 glc dlc
	s_waitcnt vmcnt(0)
	buffer_gl1_inv
	buffer_gl0_inv
	v_and_b32_e32 v4, 1, v4
	s_branch .LBB1_95
.LBB1_100:                              ;   in Loop: Header=BB1_29 Depth=1
	global_load_dwordx4 v[2:5], v[2:3], off
	s_and_saveexec_b32 s5, s4
	s_cbranch_execz .LBB1_28
; %bb.101:                              ;   in Loop: Header=BB1_29 Depth=1
	s_clause 0x2
	global_load_dwordx2 v[4:5], v6, s[24:25] offset:40
	global_load_dwordx2 v[13:14], v6, s[24:25] offset:24 glc dlc
	global_load_dwordx2 v[11:12], v6, s[24:25]
	s_waitcnt vmcnt(2)
	v_add_co_u32 v15, vcc_lo, v4, 1
	v_add_co_ci_u32_e32 v16, vcc_lo, 0, v5, vcc_lo
	v_add_co_u32 v9, vcc_lo, v15, s14
	v_add_co_ci_u32_e32 v10, vcc_lo, s15, v16, vcc_lo
	v_cmp_eq_u64_e32 vcc_lo, 0, v[9:10]
	v_cndmask_b32_e32 v10, v10, v16, vcc_lo
	v_cndmask_b32_e32 v9, v9, v15, vcc_lo
	v_and_b32_e32 v5, v10, v5
	v_and_b32_e32 v4, v9, v4
	v_mul_lo_u32 v5, v5, 24
	v_mul_hi_u32 v15, v4, 24
	v_mul_lo_u32 v4, v4, 24
	v_add_nc_u32_e32 v5, v15, v5
	s_waitcnt vmcnt(0)
	v_add_co_u32 v4, vcc_lo, v11, v4
	v_mov_b32_e32 v11, v13
	v_add_co_ci_u32_e32 v5, vcc_lo, v12, v5, vcc_lo
	v_mov_b32_e32 v12, v14
	global_store_dwordx2 v[4:5], v[13:14], off
	s_waitcnt_vscnt null, 0x0
	global_atomic_cmpswap_x2 v[11:12], v6, v[9:12], s[24:25] offset:24 glc
	s_waitcnt vmcnt(0)
	v_cmp_ne_u64_e32 vcc_lo, v[11:12], v[13:14]
	s_and_b32 exec_lo, exec_lo, vcc_lo
	s_cbranch_execz .LBB1_28
; %bb.102:                              ;   in Loop: Header=BB1_29 Depth=1
	s_mov_b32 s4, 0
.LBB1_103:                              ;   Parent Loop BB1_29 Depth=1
                                        ; =>  This Inner Loop Header: Depth=2
	s_sleep 1
	global_store_dwordx2 v[4:5], v[11:12], off
	s_waitcnt_vscnt null, 0x0
	global_atomic_cmpswap_x2 v[13:14], v6, v[9:12], s[24:25] offset:24 glc
	s_waitcnt vmcnt(0)
	v_cmp_eq_u64_e32 vcc_lo, v[13:14], v[11:12]
	v_mov_b32_e32 v11, v13
	v_mov_b32_e32 v12, v14
	s_or_b32 s4, vcc_lo, s4
	s_andn2_b32 exec_lo, exec_lo, s4
	s_cbranch_execnz .LBB1_103
	s_branch .LBB1_28
.LBB1_104:
	s_branch .LBB1_133
.LBB1_105:
                                        ; implicit-def: $vgpr2_vgpr3
	s_cbranch_execz .LBB1_133
; %bb.106:
	v_readfirstlane_b32 s4, v39
	v_mov_b32_e32 v8, 0
	v_mov_b32_e32 v9, 0
	v_cmp_eq_u32_e64 s4, s4, v39
	s_and_saveexec_b32 s5, s4
	s_cbranch_execz .LBB1_112
; %bb.107:
	s_waitcnt vmcnt(0)
	v_mov_b32_e32 v2, 0
	s_mov_b32 s6, exec_lo
	global_load_dwordx2 v[5:6], v2, s[24:25] offset:24 glc dlc
	s_waitcnt vmcnt(0)
	buffer_gl1_inv
	buffer_gl0_inv
	s_clause 0x1
	global_load_dwordx2 v[3:4], v2, s[24:25] offset:40
	global_load_dwordx2 v[7:8], v2, s[24:25]
	s_waitcnt vmcnt(1)
	v_and_b32_e32 v4, v4, v6
	v_and_b32_e32 v3, v3, v5
	v_mul_lo_u32 v4, v4, 24
	v_mul_hi_u32 v9, v3, 24
	v_mul_lo_u32 v3, v3, 24
	v_add_nc_u32_e32 v4, v9, v4
	s_waitcnt vmcnt(0)
	v_add_co_u32 v3, vcc_lo, v7, v3
	v_add_co_ci_u32_e32 v4, vcc_lo, v8, v4, vcc_lo
	global_load_dwordx2 v[3:4], v[3:4], off glc dlc
	s_waitcnt vmcnt(0)
	global_atomic_cmpswap_x2 v[8:9], v2, v[3:6], s[24:25] offset:24 glc
	s_waitcnt vmcnt(0)
	buffer_gl1_inv
	buffer_gl0_inv
	v_cmpx_ne_u64_e64 v[8:9], v[5:6]
	s_cbranch_execz .LBB1_111
; %bb.108:
	s_mov_b32 s7, 0
	.p2align	6
.LBB1_109:                              ; =>This Inner Loop Header: Depth=1
	s_sleep 1
	s_clause 0x1
	global_load_dwordx2 v[3:4], v2, s[24:25] offset:40
	global_load_dwordx2 v[10:11], v2, s[24:25]
	v_mov_b32_e32 v5, v8
	v_mov_b32_e32 v6, v9
	s_waitcnt vmcnt(1)
	v_and_b32_e32 v3, v3, v5
	v_and_b32_e32 v4, v4, v6
	s_waitcnt vmcnt(0)
	v_mad_u64_u32 v[7:8], null, v3, 24, v[10:11]
	v_mov_b32_e32 v3, v8
	v_mad_u64_u32 v[3:4], null, v4, 24, v[3:4]
	v_mov_b32_e32 v8, v3
	global_load_dwordx2 v[3:4], v[7:8], off glc dlc
	s_waitcnt vmcnt(0)
	global_atomic_cmpswap_x2 v[8:9], v2, v[3:6], s[24:25] offset:24 glc
	s_waitcnt vmcnt(0)
	buffer_gl1_inv
	buffer_gl0_inv
	v_cmp_eq_u64_e32 vcc_lo, v[8:9], v[5:6]
	s_or_b32 s7, vcc_lo, s7
	s_andn2_b32 exec_lo, exec_lo, s7
	s_cbranch_execnz .LBB1_109
; %bb.110:
	s_or_b32 exec_lo, exec_lo, s7
.LBB1_111:
	s_or_b32 exec_lo, exec_lo, s6
.LBB1_112:
	s_or_b32 exec_lo, exec_lo, s5
	s_waitcnt vmcnt(0)
	v_mov_b32_e32 v2, 0
	v_readfirstlane_b32 s6, v8
	v_readfirstlane_b32 s7, v9
	s_mov_b32 s5, exec_lo
	s_clause 0x1
	global_load_dwordx2 v[10:11], v2, s[24:25] offset:40
	global_load_dwordx4 v[4:7], v2, s[24:25]
	s_waitcnt vmcnt(1)
	v_readfirstlane_b32 s10, v10
	v_readfirstlane_b32 s11, v11
	s_and_b64 s[10:11], s[6:7], s[10:11]
	s_mul_i32 s12, s11, 24
	s_mul_hi_u32 s13, s10, 24
	s_mul_i32 s14, s10, 24
	s_add_i32 s13, s13, s12
	s_waitcnt vmcnt(0)
	v_add_co_u32 v8, vcc_lo, v4, s14
	v_add_co_ci_u32_e32 v9, vcc_lo, s13, v5, vcc_lo
	s_and_saveexec_b32 s12, s4
	s_cbranch_execz .LBB1_114
; %bb.113:
	v_mov_b32_e32 v10, s5
	v_mov_b32_e32 v11, v2
	;; [unrolled: 1-line block ×4, first 2 shown]
	global_store_dwordx4 v[8:9], v[10:13], off offset:8
.LBB1_114:
	s_or_b32 exec_lo, exec_lo, s12
	s_lshl_b64 s[10:11], s[10:11], 12
	s_mov_b32 s12, 0
	v_add_co_u32 v6, vcc_lo, v6, s10
	v_add_co_ci_u32_e32 v7, vcc_lo, s11, v7, vcc_lo
	s_mov_b32 s13, s12
	v_readfirstlane_b32 s10, v6
	v_add_co_u32 v6, vcc_lo, v6, v38
	s_mov_b32 s14, s12
	s_mov_b32 s15, s12
	v_and_or_b32 v0, 0xffffff1f, v0, 32
	v_mov_b32_e32 v3, v2
	v_readfirstlane_b32 s11, v7
	v_mov_b32_e32 v10, s12
	v_add_co_ci_u32_e32 v7, vcc_lo, 0, v7, vcc_lo
	v_mov_b32_e32 v11, s13
	v_mov_b32_e32 v12, s14
	v_mov_b32_e32 v13, s15
	global_store_dwordx4 v38, v[0:3], s[10:11]
	global_store_dwordx4 v38, v[10:13], s[10:11] offset:16
	global_store_dwordx4 v38, v[10:13], s[10:11] offset:32
	;; [unrolled: 1-line block ×3, first 2 shown]
	s_and_saveexec_b32 s5, s4
	s_cbranch_execz .LBB1_122
; %bb.115:
	v_mov_b32_e32 v10, 0
	v_mov_b32_e32 v11, s6
	;; [unrolled: 1-line block ×3, first 2 shown]
	s_clause 0x1
	global_load_dwordx2 v[13:14], v10, s[24:25] offset:32 glc dlc
	global_load_dwordx2 v[0:1], v10, s[24:25] offset:40
	s_waitcnt vmcnt(0)
	v_readfirstlane_b32 s10, v0
	v_readfirstlane_b32 s11, v1
	s_and_b64 s[10:11], s[10:11], s[6:7]
	s_mul_i32 s11, s11, 24
	s_mul_hi_u32 s12, s10, 24
	s_mul_i32 s10, s10, 24
	s_add_i32 s12, s12, s11
	v_add_co_u32 v4, vcc_lo, v4, s10
	v_add_co_ci_u32_e32 v5, vcc_lo, s12, v5, vcc_lo
	s_mov_b32 s10, exec_lo
	global_store_dwordx2 v[4:5], v[13:14], off
	s_waitcnt_vscnt null, 0x0
	global_atomic_cmpswap_x2 v[2:3], v10, v[11:14], s[24:25] offset:32 glc
	s_waitcnt vmcnt(0)
	v_cmpx_ne_u64_e64 v[2:3], v[13:14]
	s_cbranch_execz .LBB1_118
; %bb.116:
	s_mov_b32 s11, 0
.LBB1_117:                              ; =>This Inner Loop Header: Depth=1
	v_mov_b32_e32 v0, s6
	v_mov_b32_e32 v1, s7
	s_sleep 1
	global_store_dwordx2 v[4:5], v[2:3], off
	s_waitcnt_vscnt null, 0x0
	global_atomic_cmpswap_x2 v[0:1], v10, v[0:3], s[24:25] offset:32 glc
	s_waitcnt vmcnt(0)
	v_cmp_eq_u64_e32 vcc_lo, v[0:1], v[2:3]
	v_mov_b32_e32 v3, v1
	v_mov_b32_e32 v2, v0
	s_or_b32 s11, vcc_lo, s11
	s_andn2_b32 exec_lo, exec_lo, s11
	s_cbranch_execnz .LBB1_117
.LBB1_118:
	s_or_b32 exec_lo, exec_lo, s10
	v_mov_b32_e32 v3, 0
	s_mov_b32 s11, exec_lo
	s_mov_b32 s10, exec_lo
	v_mbcnt_lo_u32_b32 v2, s11, 0
	global_load_dwordx2 v[0:1], v3, s[24:25] offset:16
	v_cmpx_eq_u32_e32 0, v2
	s_cbranch_execz .LBB1_120
; %bb.119:
	s_bcnt1_i32_b32 s11, s11
	v_mov_b32_e32 v2, s11
	s_waitcnt vmcnt(0)
	global_atomic_add_x2 v[0:1], v[2:3], off offset:8
.LBB1_120:
	s_or_b32 exec_lo, exec_lo, s10
	s_waitcnt vmcnt(0)
	global_load_dwordx2 v[2:3], v[0:1], off offset:16
	s_waitcnt vmcnt(0)
	v_cmp_eq_u64_e32 vcc_lo, 0, v[2:3]
	s_cbranch_vccnz .LBB1_122
; %bb.121:
	global_load_dword v0, v[0:1], off offset:24
	v_mov_b32_e32 v1, 0
	s_waitcnt vmcnt(0)
	v_and_b32_e32 v4, 0x7fffff, v0
	s_waitcnt_vscnt null, 0x0
	global_store_dwordx2 v[2:3], v[0:1], off
	v_readfirstlane_b32 m0, v4
	s_sendmsg sendmsg(MSG_INTERRUPT)
.LBB1_122:
	s_or_b32 exec_lo, exec_lo, s5
	s_branch .LBB1_126
	.p2align	6
.LBB1_123:                              ;   in Loop: Header=BB1_126 Depth=1
	s_or_b32 exec_lo, exec_lo, s5
	v_readfirstlane_b32 s5, v0
	s_cmp_eq_u32 s5, 0
	s_cbranch_scc1 .LBB1_125
; %bb.124:                              ;   in Loop: Header=BB1_126 Depth=1
	s_sleep 1
	s_cbranch_execnz .LBB1_126
	s_branch .LBB1_128
	.p2align	6
.LBB1_125:
	s_branch .LBB1_128
.LBB1_126:                              ; =>This Inner Loop Header: Depth=1
	v_mov_b32_e32 v0, 1
	s_and_saveexec_b32 s5, s4
	s_cbranch_execz .LBB1_123
; %bb.127:                              ;   in Loop: Header=BB1_126 Depth=1
	global_load_dword v0, v[8:9], off offset:20 glc dlc
	s_waitcnt vmcnt(0)
	buffer_gl1_inv
	buffer_gl0_inv
	v_and_b32_e32 v0, 1, v0
	s_branch .LBB1_123
.LBB1_128:
	global_load_dwordx2 v[2:3], v[6:7], off
	s_and_saveexec_b32 s5, s4
	s_cbranch_execz .LBB1_132
; %bb.129:
	v_mov_b32_e32 v8, 0
	s_clause 0x2
	global_load_dwordx2 v[0:1], v8, s[24:25] offset:40
	global_load_dwordx2 v[9:10], v8, s[24:25] offset:24 glc dlc
	global_load_dwordx2 v[6:7], v8, s[24:25]
	s_waitcnt vmcnt(2)
	v_add_co_u32 v11, vcc_lo, v0, 1
	v_add_co_ci_u32_e32 v12, vcc_lo, 0, v1, vcc_lo
	v_add_co_u32 v4, vcc_lo, v11, s6
	v_add_co_ci_u32_e32 v5, vcc_lo, s7, v12, vcc_lo
	v_cmp_eq_u64_e32 vcc_lo, 0, v[4:5]
	v_cndmask_b32_e32 v5, v5, v12, vcc_lo
	v_cndmask_b32_e32 v4, v4, v11, vcc_lo
	v_and_b32_e32 v1, v5, v1
	v_and_b32_e32 v0, v4, v0
	v_mul_lo_u32 v1, v1, 24
	v_mul_hi_u32 v11, v0, 24
	v_mul_lo_u32 v0, v0, 24
	v_add_nc_u32_e32 v1, v11, v1
	s_waitcnt vmcnt(0)
	v_add_co_u32 v0, vcc_lo, v6, v0
	v_mov_b32_e32 v6, v9
	v_add_co_ci_u32_e32 v1, vcc_lo, v7, v1, vcc_lo
	v_mov_b32_e32 v7, v10
	global_store_dwordx2 v[0:1], v[9:10], off
	s_waitcnt_vscnt null, 0x0
	global_atomic_cmpswap_x2 v[6:7], v8, v[4:7], s[24:25] offset:24 glc
	s_waitcnt vmcnt(0)
	v_cmp_ne_u64_e32 vcc_lo, v[6:7], v[9:10]
	s_and_b32 exec_lo, exec_lo, vcc_lo
	s_cbranch_execz .LBB1_132
; %bb.130:
	s_mov_b32 s4, 0
.LBB1_131:                              ; =>This Inner Loop Header: Depth=1
	s_sleep 1
	global_store_dwordx2 v[0:1], v[6:7], off
	s_waitcnt_vscnt null, 0x0
	global_atomic_cmpswap_x2 v[9:10], v8, v[4:7], s[24:25] offset:24 glc
	s_waitcnt vmcnt(0)
	v_cmp_eq_u64_e32 vcc_lo, v[9:10], v[6:7]
	v_mov_b32_e32 v6, v9
	v_mov_b32_e32 v7, v10
	s_or_b32 s4, vcc_lo, s4
	s_andn2_b32 exec_lo, exec_lo, s4
	s_cbranch_execnz .LBB1_131
.LBB1_132:
	s_or_b32 exec_lo, exec_lo, s5
.LBB1_133:
	v_readfirstlane_b32 s4, v39
	s_waitcnt vmcnt(0)
	v_mov_b32_e32 v0, 0
	v_mov_b32_e32 v1, 0
	v_cmp_eq_u32_e64 s4, s4, v39
	s_and_saveexec_b32 s5, s4
	s_cbranch_execz .LBB1_139
; %bb.134:
	v_mov_b32_e32 v4, 0
	s_mov_b32 s6, exec_lo
	global_load_dwordx2 v[7:8], v4, s[24:25] offset:24 glc dlc
	s_waitcnt vmcnt(0)
	buffer_gl1_inv
	buffer_gl0_inv
	s_clause 0x1
	global_load_dwordx2 v[0:1], v4, s[24:25] offset:40
	global_load_dwordx2 v[5:6], v4, s[24:25]
	s_waitcnt vmcnt(1)
	v_and_b32_e32 v1, v1, v8
	v_and_b32_e32 v0, v0, v7
	v_mul_lo_u32 v1, v1, 24
	v_mul_hi_u32 v9, v0, 24
	v_mul_lo_u32 v0, v0, 24
	v_add_nc_u32_e32 v1, v9, v1
	s_waitcnt vmcnt(0)
	v_add_co_u32 v0, vcc_lo, v5, v0
	v_add_co_ci_u32_e32 v1, vcc_lo, v6, v1, vcc_lo
	global_load_dwordx2 v[5:6], v[0:1], off glc dlc
	s_waitcnt vmcnt(0)
	global_atomic_cmpswap_x2 v[0:1], v4, v[5:8], s[24:25] offset:24 glc
	s_waitcnt vmcnt(0)
	buffer_gl1_inv
	buffer_gl0_inv
	v_cmpx_ne_u64_e64 v[0:1], v[7:8]
	s_cbranch_execz .LBB1_138
; %bb.135:
	s_mov_b32 s7, 0
	.p2align	6
.LBB1_136:                              ; =>This Inner Loop Header: Depth=1
	s_sleep 1
	s_clause 0x1
	global_load_dwordx2 v[5:6], v4, s[24:25] offset:40
	global_load_dwordx2 v[9:10], v4, s[24:25]
	v_mov_b32_e32 v8, v1
	v_mov_b32_e32 v7, v0
	s_waitcnt vmcnt(1)
	v_and_b32_e32 v0, v5, v7
	v_and_b32_e32 v5, v6, v8
	s_waitcnt vmcnt(0)
	v_mad_u64_u32 v[0:1], null, v0, 24, v[9:10]
	v_mad_u64_u32 v[5:6], null, v5, 24, v[1:2]
	v_mov_b32_e32 v1, v5
	global_load_dwordx2 v[5:6], v[0:1], off glc dlc
	s_waitcnt vmcnt(0)
	global_atomic_cmpswap_x2 v[0:1], v4, v[5:8], s[24:25] offset:24 glc
	s_waitcnt vmcnt(0)
	buffer_gl1_inv
	buffer_gl0_inv
	v_cmp_eq_u64_e32 vcc_lo, v[0:1], v[7:8]
	s_or_b32 s7, vcc_lo, s7
	s_andn2_b32 exec_lo, exec_lo, s7
	s_cbranch_execnz .LBB1_136
; %bb.137:
	s_or_b32 exec_lo, exec_lo, s7
.LBB1_138:
	s_or_b32 exec_lo, exec_lo, s6
.LBB1_139:
	s_or_b32 exec_lo, exec_lo, s5
	v_mov_b32_e32 v11, 0
	v_readfirstlane_b32 s6, v0
	v_readfirstlane_b32 s7, v1
	s_mov_b32 s5, exec_lo
	s_clause 0x1
	global_load_dwordx2 v[4:5], v11, s[24:25] offset:40
	global_load_dwordx4 v[6:9], v11, s[24:25]
	s_waitcnt vmcnt(1)
	v_readfirstlane_b32 s10, v4
	v_readfirstlane_b32 s11, v5
	s_and_b64 s[10:11], s[6:7], s[10:11]
	s_mul_i32 s12, s11, 24
	s_mul_hi_u32 s13, s10, 24
	s_mul_i32 s14, s10, 24
	s_add_i32 s13, s13, s12
	s_waitcnt vmcnt(0)
	v_add_co_u32 v14, vcc_lo, v6, s14
	v_add_co_ci_u32_e32 v15, vcc_lo, s13, v7, vcc_lo
	s_and_saveexec_b32 s12, s4
	s_cbranch_execz .LBB1_141
; %bb.140:
	v_mov_b32_e32 v10, s5
	v_mov_b32_e32 v12, 2
	;; [unrolled: 1-line block ×3, first 2 shown]
	global_store_dwordx4 v[14:15], v[10:13], off offset:8
.LBB1_141:
	s_or_b32 exec_lo, exec_lo, s12
	s_lshl_b64 s[10:11], s[10:11], 12
	s_mov_b32 s12, 0
	v_add_co_u32 v0, vcc_lo, v8, s10
	v_add_co_ci_u32_e32 v1, vcc_lo, s11, v9, vcc_lo
	s_mov_b32 s13, s12
	s_mov_b32 s14, s12
	;; [unrolled: 1-line block ×3, first 2 shown]
	v_and_or_b32 v2, 0xffffff1d, v2, 34
	s_waitcnt lgkmcnt(0)
	v_ashrrev_i32_e32 v5, 31, v31
	v_mov_b32_e32 v4, v31
	v_readfirstlane_b32 s10, v0
	v_readfirstlane_b32 s11, v1
	v_mov_b32_e32 v8, s12
	v_mov_b32_e32 v9, s13
	;; [unrolled: 1-line block ×4, first 2 shown]
	global_store_dwordx4 v38, v[2:5], s[10:11]
	global_store_dwordx4 v38, v[8:11], s[10:11] offset:16
	global_store_dwordx4 v38, v[8:11], s[10:11] offset:32
	;; [unrolled: 1-line block ×3, first 2 shown]
	s_and_saveexec_b32 s5, s4
	s_cbranch_execz .LBB1_149
; %bb.142:
	v_mov_b32_e32 v8, 0
	v_mov_b32_e32 v9, s6
	;; [unrolled: 1-line block ×3, first 2 shown]
	s_clause 0x1
	global_load_dwordx2 v[11:12], v8, s[24:25] offset:32 glc dlc
	global_load_dwordx2 v[0:1], v8, s[24:25] offset:40
	s_waitcnt vmcnt(0)
	v_readfirstlane_b32 s10, v0
	v_readfirstlane_b32 s11, v1
	s_and_b64 s[10:11], s[10:11], s[6:7]
	s_mul_i32 s11, s11, 24
	s_mul_hi_u32 s12, s10, 24
	s_mul_i32 s10, s10, 24
	s_add_i32 s12, s12, s11
	v_add_co_u32 v4, vcc_lo, v6, s10
	v_add_co_ci_u32_e32 v5, vcc_lo, s12, v7, vcc_lo
	s_mov_b32 s10, exec_lo
	global_store_dwordx2 v[4:5], v[11:12], off
	s_waitcnt_vscnt null, 0x0
	global_atomic_cmpswap_x2 v[2:3], v8, v[9:12], s[24:25] offset:32 glc
	s_waitcnt vmcnt(0)
	v_cmpx_ne_u64_e64 v[2:3], v[11:12]
	s_cbranch_execz .LBB1_145
; %bb.143:
	s_mov_b32 s11, 0
.LBB1_144:                              ; =>This Inner Loop Header: Depth=1
	v_mov_b32_e32 v0, s6
	v_mov_b32_e32 v1, s7
	s_sleep 1
	global_store_dwordx2 v[4:5], v[2:3], off
	s_waitcnt_vscnt null, 0x0
	global_atomic_cmpswap_x2 v[0:1], v8, v[0:3], s[24:25] offset:32 glc
	s_waitcnt vmcnt(0)
	v_cmp_eq_u64_e32 vcc_lo, v[0:1], v[2:3]
	v_mov_b32_e32 v3, v1
	v_mov_b32_e32 v2, v0
	s_or_b32 s11, vcc_lo, s11
	s_andn2_b32 exec_lo, exec_lo, s11
	s_cbranch_execnz .LBB1_144
.LBB1_145:
	s_or_b32 exec_lo, exec_lo, s10
	v_mov_b32_e32 v3, 0
	s_mov_b32 s11, exec_lo
	s_mov_b32 s10, exec_lo
	v_mbcnt_lo_u32_b32 v2, s11, 0
	global_load_dwordx2 v[0:1], v3, s[24:25] offset:16
	v_cmpx_eq_u32_e32 0, v2
	s_cbranch_execz .LBB1_147
; %bb.146:
	s_bcnt1_i32_b32 s11, s11
	v_mov_b32_e32 v2, s11
	s_waitcnt vmcnt(0)
	global_atomic_add_x2 v[0:1], v[2:3], off offset:8
.LBB1_147:
	s_or_b32 exec_lo, exec_lo, s10
	s_waitcnt vmcnt(0)
	global_load_dwordx2 v[2:3], v[0:1], off offset:16
	s_waitcnt vmcnt(0)
	v_cmp_eq_u64_e32 vcc_lo, 0, v[2:3]
	s_cbranch_vccnz .LBB1_149
; %bb.148:
	global_load_dword v0, v[0:1], off offset:24
	v_mov_b32_e32 v1, 0
	s_waitcnt vmcnt(0)
	v_and_b32_e32 v4, 0x7fffff, v0
	s_waitcnt_vscnt null, 0x0
	global_store_dwordx2 v[2:3], v[0:1], off
	v_readfirstlane_b32 m0, v4
	s_sendmsg sendmsg(MSG_INTERRUPT)
.LBB1_149:
	s_or_b32 exec_lo, exec_lo, s5
	s_branch .LBB1_153
	.p2align	6
.LBB1_150:                              ;   in Loop: Header=BB1_153 Depth=1
	s_or_b32 exec_lo, exec_lo, s5
	v_readfirstlane_b32 s5, v0
	s_cmp_eq_u32 s5, 0
	s_cbranch_scc1 .LBB1_152
; %bb.151:                              ;   in Loop: Header=BB1_153 Depth=1
	s_sleep 1
	s_cbranch_execnz .LBB1_153
	s_branch .LBB1_155
	.p2align	6
.LBB1_152:
	s_branch .LBB1_155
.LBB1_153:                              ; =>This Inner Loop Header: Depth=1
	v_mov_b32_e32 v0, 1
	s_and_saveexec_b32 s5, s4
	s_cbranch_execz .LBB1_150
; %bb.154:                              ;   in Loop: Header=BB1_153 Depth=1
	global_load_dword v0, v[14:15], off offset:20 glc dlc
	s_waitcnt vmcnt(0)
	buffer_gl1_inv
	buffer_gl0_inv
	v_and_b32_e32 v0, 1, v0
	s_branch .LBB1_150
.LBB1_155:
	s_and_saveexec_b32 s5, s4
	s_cbranch_execz .LBB1_159
; %bb.156:
	v_mov_b32_e32 v6, 0
	s_clause 0x2
	global_load_dwordx2 v[2:3], v6, s[24:25] offset:40
	global_load_dwordx2 v[7:8], v6, s[24:25] offset:24 glc dlc
	global_load_dwordx2 v[4:5], v6, s[24:25]
	s_waitcnt vmcnt(2)
	v_add_co_u32 v9, vcc_lo, v2, 1
	v_add_co_ci_u32_e32 v10, vcc_lo, 0, v3, vcc_lo
	v_add_co_u32 v0, vcc_lo, v9, s6
	v_add_co_ci_u32_e32 v1, vcc_lo, s7, v10, vcc_lo
	v_cmp_eq_u64_e32 vcc_lo, 0, v[0:1]
	v_cndmask_b32_e32 v1, v1, v10, vcc_lo
	v_cndmask_b32_e32 v0, v0, v9, vcc_lo
	v_and_b32_e32 v3, v1, v3
	v_and_b32_e32 v2, v0, v2
	v_mul_lo_u32 v3, v3, 24
	v_mul_hi_u32 v9, v2, 24
	v_mul_lo_u32 v2, v2, 24
	v_add_nc_u32_e32 v3, v9, v3
	s_waitcnt vmcnt(0)
	v_add_co_u32 v4, vcc_lo, v4, v2
	v_mov_b32_e32 v2, v7
	v_add_co_ci_u32_e32 v5, vcc_lo, v5, v3, vcc_lo
	v_mov_b32_e32 v3, v8
	global_store_dwordx2 v[4:5], v[7:8], off
	s_waitcnt_vscnt null, 0x0
	global_atomic_cmpswap_x2 v[2:3], v6, v[0:3], s[24:25] offset:24 glc
	s_waitcnt vmcnt(0)
	v_cmp_ne_u64_e32 vcc_lo, v[2:3], v[7:8]
	s_and_b32 exec_lo, exec_lo, vcc_lo
	s_cbranch_execz .LBB1_159
; %bb.157:
	s_mov_b32 s4, 0
.LBB1_158:                              ; =>This Inner Loop Header: Depth=1
	s_sleep 1
	global_store_dwordx2 v[4:5], v[2:3], off
	s_waitcnt_vscnt null, 0x0
	global_atomic_cmpswap_x2 v[7:8], v6, v[0:3], s[24:25] offset:24 glc
	s_waitcnt vmcnt(0)
	v_cmp_eq_u64_e32 vcc_lo, v[7:8], v[2:3]
	v_mov_b32_e32 v2, v7
	v_mov_b32_e32 v3, v8
	s_or_b32 s4, vcc_lo, s4
	s_andn2_b32 exec_lo, exec_lo, s4
	s_cbranch_execnz .LBB1_158
.LBB1_159:
	s_or_b32 exec_lo, exec_lo, s5
	s_getpc_b64 s[28:29]
	s_add_u32 s28, s28, .str.11@rel32@lo+4
	s_addc_u32 s29, s29, .str.11@rel32@hi+12
	v_mov_b32_e32 v0, s28
	v_mov_b32_e32 v1, s29
	s_mov_b64 s[8:9], s[22:23]
	s_getpc_b64 s[34:35]
	s_add_u32 s34, s34, _ZNK8migraphx13basic_printerIZNS_4coutEvEUlT_E_ElsEPKc@rel32@lo+4
	s_addc_u32 s35, s35, _ZNK8migraphx13basic_printerIZNS_4coutEvEUlT_E_ElsEPKc@rel32@hi+12
	s_swappc_b64 s[30:31], s[34:35]
	s_getpc_b64 s[4:5]
	s_add_u32 s4, s4, .str.13@rel32@lo+4
	s_addc_u32 s5, s5, .str.13@rel32@hi+12
	v_mov_b32_e32 v0, s4
	v_mov_b32_e32 v1, s5
	s_mov_b64 s[8:9], s[22:23]
	s_swappc_b64 s[30:31], s[34:35]
	v_mov_b32_e32 v0, s28
	v_mov_b32_e32 v1, s29
	s_mov_b64 s[8:9], s[22:23]
	s_swappc_b64 s[30:31], s[34:35]
	flat_load_dword v31, v[36:37] offset:8
	v_readfirstlane_b32 s4, v39
	v_mov_b32_e32 v6, 0
	v_mov_b32_e32 v7, 0
	v_cmp_eq_u32_e64 s4, s4, v39
	s_and_saveexec_b32 s5, s4
	s_cbranch_execz .LBB1_165
; %bb.160:
	v_mov_b32_e32 v0, 0
	s_mov_b32 s6, exec_lo
	global_load_dwordx2 v[3:4], v0, s[24:25] offset:24 glc dlc
	s_waitcnt vmcnt(0)
	buffer_gl1_inv
	buffer_gl0_inv
	s_clause 0x1
	global_load_dwordx2 v[1:2], v0, s[24:25] offset:40
	global_load_dwordx2 v[5:6], v0, s[24:25]
	s_waitcnt vmcnt(1)
	v_and_b32_e32 v2, v2, v4
	v_and_b32_e32 v1, v1, v3
	v_mul_lo_u32 v2, v2, 24
	v_mul_hi_u32 v7, v1, 24
	v_mul_lo_u32 v1, v1, 24
	v_add_nc_u32_e32 v2, v7, v2
	s_waitcnt vmcnt(0)
	v_add_co_u32 v1, vcc_lo, v5, v1
	v_add_co_ci_u32_e32 v2, vcc_lo, v6, v2, vcc_lo
	global_load_dwordx2 v[1:2], v[1:2], off glc dlc
	s_waitcnt vmcnt(0)
	global_atomic_cmpswap_x2 v[6:7], v0, v[1:4], s[24:25] offset:24 glc
	s_waitcnt vmcnt(0)
	buffer_gl1_inv
	buffer_gl0_inv
	v_cmpx_ne_u64_e64 v[6:7], v[3:4]
	s_cbranch_execz .LBB1_164
; %bb.161:
	s_mov_b32 s7, 0
	.p2align	6
.LBB1_162:                              ; =>This Inner Loop Header: Depth=1
	s_sleep 1
	s_clause 0x1
	global_load_dwordx2 v[1:2], v0, s[24:25] offset:40
	global_load_dwordx2 v[8:9], v0, s[24:25]
	v_mov_b32_e32 v3, v6
	v_mov_b32_e32 v4, v7
	s_waitcnt vmcnt(1)
	v_and_b32_e32 v1, v1, v3
	v_and_b32_e32 v2, v2, v4
	s_waitcnt vmcnt(0)
	v_mad_u64_u32 v[5:6], null, v1, 24, v[8:9]
	v_mov_b32_e32 v1, v6
	v_mad_u64_u32 v[1:2], null, v2, 24, v[1:2]
	v_mov_b32_e32 v6, v1
	global_load_dwordx2 v[1:2], v[5:6], off glc dlc
	s_waitcnt vmcnt(0)
	global_atomic_cmpswap_x2 v[6:7], v0, v[1:4], s[24:25] offset:24 glc
	s_waitcnt vmcnt(0)
	buffer_gl1_inv
	buffer_gl0_inv
	v_cmp_eq_u64_e32 vcc_lo, v[6:7], v[3:4]
	s_or_b32 s7, vcc_lo, s7
	s_andn2_b32 exec_lo, exec_lo, s7
	s_cbranch_execnz .LBB1_162
; %bb.163:
	s_or_b32 exec_lo, exec_lo, s7
.LBB1_164:
	s_or_b32 exec_lo, exec_lo, s6
.LBB1_165:
	s_or_b32 exec_lo, exec_lo, s5
	v_mov_b32_e32 v5, 0
	v_readfirstlane_b32 s6, v6
	v_readfirstlane_b32 s7, v7
	s_mov_b32 s5, exec_lo
	s_clause 0x1
	global_load_dwordx2 v[8:9], v5, s[24:25] offset:40
	global_load_dwordx4 v[0:3], v5, s[24:25]
	s_waitcnt vmcnt(1)
	v_readfirstlane_b32 s8, v8
	v_readfirstlane_b32 s9, v9
	s_and_b64 s[8:9], s[6:7], s[8:9]
	s_mul_i32 s10, s9, 24
	s_mul_hi_u32 s11, s8, 24
	s_mul_i32 s12, s8, 24
	s_add_i32 s11, s11, s10
	s_waitcnt vmcnt(0)
	v_add_co_u32 v8, vcc_lo, v0, s12
	v_add_co_ci_u32_e32 v9, vcc_lo, s11, v1, vcc_lo
	s_and_saveexec_b32 s10, s4
	s_cbranch_execz .LBB1_167
; %bb.166:
	v_mov_b32_e32 v4, s5
	v_mov_b32_e32 v6, 2
	;; [unrolled: 1-line block ×3, first 2 shown]
	global_store_dwordx4 v[8:9], v[4:7], off offset:8
.LBB1_167:
	s_or_b32 exec_lo, exec_lo, s10
	s_lshl_b64 s[8:9], s[8:9], 12
	v_mov_b32_e32 v4, 33
	v_add_co_u32 v2, vcc_lo, v2, s8
	v_add_co_ci_u32_e32 v3, vcc_lo, s9, v3, vcc_lo
	s_mov_b32 s8, 0
	v_add_co_u32 v10, vcc_lo, v2, v38
	s_mov_b32 s11, s8
	s_mov_b32 s9, s8
	;; [unrolled: 1-line block ×3, first 2 shown]
	v_mov_b32_e32 v6, v5
	v_mov_b32_e32 v7, v5
	v_readfirstlane_b32 s12, v2
	v_readfirstlane_b32 s13, v3
	v_mov_b32_e32 v15, s11
	v_add_co_ci_u32_e32 v11, vcc_lo, 0, v3, vcc_lo
	v_mov_b32_e32 v14, s10
	v_mov_b32_e32 v13, s9
	;; [unrolled: 1-line block ×3, first 2 shown]
	global_store_dwordx4 v38, v[4:7], s[12:13]
	global_store_dwordx4 v38, v[12:15], s[12:13] offset:16
	global_store_dwordx4 v38, v[12:15], s[12:13] offset:32
	;; [unrolled: 1-line block ×3, first 2 shown]
	s_and_saveexec_b32 s5, s4
	s_cbranch_execz .LBB1_175
; %bb.168:
	v_mov_b32_e32 v6, 0
	v_mov_b32_e32 v12, s6
	;; [unrolled: 1-line block ×3, first 2 shown]
	s_clause 0x1
	global_load_dwordx2 v[14:15], v6, s[24:25] offset:32 glc dlc
	global_load_dwordx2 v[2:3], v6, s[24:25] offset:40
	s_waitcnt vmcnt(0)
	v_readfirstlane_b32 s8, v2
	v_readfirstlane_b32 s9, v3
	s_and_b64 s[8:9], s[8:9], s[6:7]
	s_mul_i32 s9, s9, 24
	s_mul_hi_u32 s10, s8, 24
	s_mul_i32 s8, s8, 24
	s_add_i32 s10, s10, s9
	v_add_co_u32 v4, vcc_lo, v0, s8
	v_add_co_ci_u32_e32 v5, vcc_lo, s10, v1, vcc_lo
	s_mov_b32 s8, exec_lo
	global_store_dwordx2 v[4:5], v[14:15], off
	s_waitcnt_vscnt null, 0x0
	global_atomic_cmpswap_x2 v[2:3], v6, v[12:15], s[24:25] offset:32 glc
	s_waitcnt vmcnt(0)
	v_cmpx_ne_u64_e64 v[2:3], v[14:15]
	s_cbranch_execz .LBB1_171
; %bb.169:
	s_mov_b32 s9, 0
.LBB1_170:                              ; =>This Inner Loop Header: Depth=1
	v_mov_b32_e32 v0, s6
	v_mov_b32_e32 v1, s7
	s_sleep 1
	global_store_dwordx2 v[4:5], v[2:3], off
	s_waitcnt_vscnt null, 0x0
	global_atomic_cmpswap_x2 v[0:1], v6, v[0:3], s[24:25] offset:32 glc
	s_waitcnt vmcnt(0)
	v_cmp_eq_u64_e32 vcc_lo, v[0:1], v[2:3]
	v_mov_b32_e32 v3, v1
	v_mov_b32_e32 v2, v0
	s_or_b32 s9, vcc_lo, s9
	s_andn2_b32 exec_lo, exec_lo, s9
	s_cbranch_execnz .LBB1_170
.LBB1_171:
	s_or_b32 exec_lo, exec_lo, s8
	v_mov_b32_e32 v3, 0
	s_mov_b32 s9, exec_lo
	s_mov_b32 s8, exec_lo
	v_mbcnt_lo_u32_b32 v2, s9, 0
	global_load_dwordx2 v[0:1], v3, s[24:25] offset:16
	v_cmpx_eq_u32_e32 0, v2
	s_cbranch_execz .LBB1_173
; %bb.172:
	s_bcnt1_i32_b32 s9, s9
	v_mov_b32_e32 v2, s9
	s_waitcnt vmcnt(0)
	global_atomic_add_x2 v[0:1], v[2:3], off offset:8
.LBB1_173:
	s_or_b32 exec_lo, exec_lo, s8
	s_waitcnt vmcnt(0)
	global_load_dwordx2 v[2:3], v[0:1], off offset:16
	s_waitcnt vmcnt(0)
	v_cmp_eq_u64_e32 vcc_lo, 0, v[2:3]
	s_cbranch_vccnz .LBB1_175
; %bb.174:
	global_load_dword v0, v[0:1], off offset:24
	v_mov_b32_e32 v1, 0
	s_waitcnt vmcnt(0)
	v_and_b32_e32 v4, 0x7fffff, v0
	s_waitcnt_vscnt null, 0x0
	global_store_dwordx2 v[2:3], v[0:1], off
	v_readfirstlane_b32 m0, v4
	s_sendmsg sendmsg(MSG_INTERRUPT)
.LBB1_175:
	s_or_b32 exec_lo, exec_lo, s5
	s_branch .LBB1_179
	.p2align	6
.LBB1_176:                              ;   in Loop: Header=BB1_179 Depth=1
	s_or_b32 exec_lo, exec_lo, s5
	v_readfirstlane_b32 s5, v0
	s_cmp_eq_u32 s5, 0
	s_cbranch_scc1 .LBB1_178
; %bb.177:                              ;   in Loop: Header=BB1_179 Depth=1
	s_sleep 1
	s_cbranch_execnz .LBB1_179
	s_branch .LBB1_181
	.p2align	6
.LBB1_178:
	s_branch .LBB1_181
.LBB1_179:                              ; =>This Inner Loop Header: Depth=1
	v_mov_b32_e32 v0, 1
	s_and_saveexec_b32 s5, s4
	s_cbranch_execz .LBB1_176
; %bb.180:                              ;   in Loop: Header=BB1_179 Depth=1
	global_load_dword v0, v[8:9], off offset:20 glc dlc
	s_waitcnt vmcnt(0)
	buffer_gl1_inv
	buffer_gl0_inv
	v_and_b32_e32 v0, 1, v0
	s_branch .LBB1_176
.LBB1_181:
	global_load_dwordx2 v[0:1], v[10:11], off
	s_and_saveexec_b32 s5, s4
	s_cbranch_execz .LBB1_185
; %bb.182:
	v_mov_b32_e32 v8, 0
	s_clause 0x2
	global_load_dwordx2 v[4:5], v8, s[24:25] offset:40
	global_load_dwordx2 v[9:10], v8, s[24:25] offset:24 glc dlc
	global_load_dwordx2 v[6:7], v8, s[24:25]
	s_waitcnt vmcnt(2)
	v_add_co_u32 v11, vcc_lo, v4, 1
	v_add_co_ci_u32_e32 v12, vcc_lo, 0, v5, vcc_lo
	v_add_co_u32 v2, vcc_lo, v11, s6
	v_add_co_ci_u32_e32 v3, vcc_lo, s7, v12, vcc_lo
	v_cmp_eq_u64_e32 vcc_lo, 0, v[2:3]
	v_cndmask_b32_e32 v3, v3, v12, vcc_lo
	v_cndmask_b32_e32 v2, v2, v11, vcc_lo
	v_and_b32_e32 v5, v3, v5
	v_and_b32_e32 v4, v2, v4
	v_mul_lo_u32 v5, v5, 24
	v_mul_hi_u32 v11, v4, 24
	v_mul_lo_u32 v4, v4, 24
	v_add_nc_u32_e32 v5, v11, v5
	s_waitcnt vmcnt(0)
	v_add_co_u32 v6, vcc_lo, v6, v4
	v_mov_b32_e32 v4, v9
	v_add_co_ci_u32_e32 v7, vcc_lo, v7, v5, vcc_lo
	v_mov_b32_e32 v5, v10
	global_store_dwordx2 v[6:7], v[9:10], off
	s_waitcnt_vscnt null, 0x0
	global_atomic_cmpswap_x2 v[4:5], v8, v[2:5], s[24:25] offset:24 glc
	s_waitcnt vmcnt(0)
	v_cmp_ne_u64_e32 vcc_lo, v[4:5], v[9:10]
	s_and_b32 exec_lo, exec_lo, vcc_lo
	s_cbranch_execz .LBB1_185
; %bb.183:
	s_mov_b32 s4, 0
.LBB1_184:                              ; =>This Inner Loop Header: Depth=1
	s_sleep 1
	global_store_dwordx2 v[6:7], v[4:5], off
	s_waitcnt_vscnt null, 0x0
	global_atomic_cmpswap_x2 v[9:10], v8, v[2:5], s[24:25] offset:24 glc
	s_waitcnt vmcnt(0)
	v_cmp_eq_u64_e32 vcc_lo, v[9:10], v[4:5]
	v_mov_b32_e32 v4, v9
	v_mov_b32_e32 v5, v10
	s_or_b32 s4, vcc_lo, s4
	s_andn2_b32 exec_lo, exec_lo, s4
	s_cbranch_execnz .LBB1_184
.LBB1_185:
	s_or_b32 exec_lo, exec_lo, s5
	s_and_b32 vcc_lo, exec_lo, s26
	s_cbranch_vccz .LBB1_264
; %bb.186:
	s_waitcnt vmcnt(0)
	v_and_b32_e32 v32, 2, v0
	v_mov_b32_e32 v6, 0
	v_and_b32_e32 v2, -3, v0
	v_mov_b32_e32 v3, v1
	v_mov_b32_e32 v7, 2
	v_mov_b32_e32 v8, 1
	s_mov_b64 s[8:9], 4
	s_getpc_b64 s[6:7]
	s_add_u32 s6, s6, .str.10@rel32@lo+4
	s_addc_u32 s7, s7, .str.10@rel32@hi+12
	s_branch .LBB1_188
.LBB1_187:                              ;   in Loop: Header=BB1_188 Depth=1
	s_or_b32 exec_lo, exec_lo, s5
	s_sub_u32 s8, s8, s10
	s_subb_u32 s9, s9, s11
	s_add_u32 s6, s6, s10
	s_addc_u32 s7, s7, s11
	s_cmp_lg_u64 s[8:9], 0
	s_cbranch_scc0 .LBB1_263
.LBB1_188:                              ; =>This Loop Header: Depth=1
                                        ;     Child Loop BB1_197 Depth 2
                                        ;     Child Loop BB1_193 Depth 2
	;; [unrolled: 1-line block ×11, first 2 shown]
	v_cmp_lt_u64_e64 s4, s[8:9], 56
	v_cmp_gt_u64_e64 s5, s[8:9], 7
                                        ; implicit-def: $vgpr11_vgpr12
                                        ; implicit-def: $sgpr16
	s_and_b32 s4, s4, exec_lo
	s_cselect_b32 s11, s9, 0
	s_cselect_b32 s10, s8, 56
	s_and_b32 vcc_lo, exec_lo, s5
	s_mov_b32 s4, -1
	s_cbranch_vccz .LBB1_195
; %bb.189:                              ;   in Loop: Header=BB1_188 Depth=1
	s_andn2_b32 vcc_lo, exec_lo, s4
	s_mov_b64 s[4:5], s[6:7]
	s_cbranch_vccz .LBB1_199
.LBB1_190:                              ;   in Loop: Header=BB1_188 Depth=1
	s_cmp_gt_u32 s16, 7
	s_cbranch_scc1 .LBB1_200
.LBB1_191:                              ;   in Loop: Header=BB1_188 Depth=1
	v_mov_b32_e32 v13, 0
	v_mov_b32_e32 v14, 0
	s_cmp_eq_u32 s16, 0
	s_cbranch_scc1 .LBB1_194
; %bb.192:                              ;   in Loop: Header=BB1_188 Depth=1
	s_mov_b64 s[12:13], 0
	s_mov_b64 s[14:15], 0
.LBB1_193:                              ;   Parent Loop BB1_188 Depth=1
                                        ; =>  This Inner Loop Header: Depth=2
	s_add_u32 s18, s4, s14
	s_addc_u32 s19, s5, s15
	s_add_u32 s14, s14, 1
	global_load_ubyte v4, v6, s[18:19]
	s_addc_u32 s15, s15, 0
	s_waitcnt vmcnt(0)
	v_and_b32_e32 v5, 0xffff, v4
	v_lshlrev_b64 v[4:5], s12, v[5:6]
	s_add_u32 s12, s12, 8
	s_addc_u32 s13, s13, 0
	s_cmp_lg_u32 s16, s14
	v_or_b32_e32 v13, v4, v13
	v_or_b32_e32 v14, v5, v14
	s_cbranch_scc1 .LBB1_193
.LBB1_194:                              ;   in Loop: Header=BB1_188 Depth=1
	s_mov_b32 s17, 0
	s_cbranch_execz .LBB1_201
	s_branch .LBB1_202
.LBB1_195:                              ;   in Loop: Header=BB1_188 Depth=1
	v_mov_b32_e32 v11, 0
	v_mov_b32_e32 v12, 0
	s_cmp_eq_u64 s[8:9], 0
	s_mov_b64 s[4:5], 0
	s_cbranch_scc1 .LBB1_198
; %bb.196:                              ;   in Loop: Header=BB1_188 Depth=1
	v_mov_b32_e32 v11, 0
	v_mov_b32_e32 v12, 0
	s_lshl_b64 s[12:13], s[10:11], 3
	s_mov_b64 s[14:15], s[6:7]
.LBB1_197:                              ;   Parent Loop BB1_188 Depth=1
                                        ; =>  This Inner Loop Header: Depth=2
	global_load_ubyte v4, v6, s[14:15]
	s_waitcnt vmcnt(0)
	v_and_b32_e32 v5, 0xffff, v4
	v_lshlrev_b64 v[4:5], s4, v[5:6]
	s_add_u32 s4, s4, 8
	s_addc_u32 s5, s5, 0
	s_add_u32 s14, s14, 1
	s_addc_u32 s15, s15, 0
	s_cmp_lg_u32 s12, s4
	v_or_b32_e32 v11, v4, v11
	v_or_b32_e32 v12, v5, v12
	s_cbranch_scc1 .LBB1_197
.LBB1_198:                              ;   in Loop: Header=BB1_188 Depth=1
	s_mov_b32 s16, 0
	s_mov_b64 s[4:5], s[6:7]
	s_cbranch_execnz .LBB1_190
.LBB1_199:                              ;   in Loop: Header=BB1_188 Depth=1
	global_load_dwordx2 v[11:12], v6, s[6:7]
	s_add_i32 s16, s10, -8
	s_add_u32 s4, s6, 8
	s_addc_u32 s5, s7, 0
	s_cmp_gt_u32 s16, 7
	s_cbranch_scc0 .LBB1_191
.LBB1_200:                              ;   in Loop: Header=BB1_188 Depth=1
                                        ; implicit-def: $vgpr13_vgpr14
                                        ; implicit-def: $sgpr17
.LBB1_201:                              ;   in Loop: Header=BB1_188 Depth=1
	global_load_dwordx2 v[13:14], v6, s[4:5]
	s_add_i32 s17, s16, -8
	s_add_u32 s4, s4, 8
	s_addc_u32 s5, s5, 0
.LBB1_202:                              ;   in Loop: Header=BB1_188 Depth=1
	s_cmp_gt_u32 s17, 7
	s_cbranch_scc1 .LBB1_207
; %bb.203:                              ;   in Loop: Header=BB1_188 Depth=1
	v_mov_b32_e32 v15, 0
	v_mov_b32_e32 v16, 0
	s_cmp_eq_u32 s17, 0
	s_cbranch_scc1 .LBB1_206
; %bb.204:                              ;   in Loop: Header=BB1_188 Depth=1
	s_mov_b64 s[12:13], 0
	s_mov_b64 s[14:15], 0
.LBB1_205:                              ;   Parent Loop BB1_188 Depth=1
                                        ; =>  This Inner Loop Header: Depth=2
	s_add_u32 s18, s4, s14
	s_addc_u32 s19, s5, s15
	s_add_u32 s14, s14, 1
	global_load_ubyte v4, v6, s[18:19]
	s_addc_u32 s15, s15, 0
	s_waitcnt vmcnt(0)
	v_and_b32_e32 v5, 0xffff, v4
	v_lshlrev_b64 v[4:5], s12, v[5:6]
	s_add_u32 s12, s12, 8
	s_addc_u32 s13, s13, 0
	s_cmp_lg_u32 s17, s14
	v_or_b32_e32 v15, v4, v15
	v_or_b32_e32 v16, v5, v16
	s_cbranch_scc1 .LBB1_205
.LBB1_206:                              ;   in Loop: Header=BB1_188 Depth=1
	s_mov_b32 s16, 0
	s_cbranch_execz .LBB1_208
	s_branch .LBB1_209
.LBB1_207:                              ;   in Loop: Header=BB1_188 Depth=1
                                        ; implicit-def: $sgpr16
.LBB1_208:                              ;   in Loop: Header=BB1_188 Depth=1
	global_load_dwordx2 v[15:16], v6, s[4:5]
	s_add_i32 s16, s17, -8
	s_add_u32 s4, s4, 8
	s_addc_u32 s5, s5, 0
.LBB1_209:                              ;   in Loop: Header=BB1_188 Depth=1
	s_cmp_gt_u32 s16, 7
	s_cbranch_scc1 .LBB1_214
; %bb.210:                              ;   in Loop: Header=BB1_188 Depth=1
	v_mov_b32_e32 v17, 0
	v_mov_b32_e32 v18, 0
	s_cmp_eq_u32 s16, 0
	s_cbranch_scc1 .LBB1_213
; %bb.211:                              ;   in Loop: Header=BB1_188 Depth=1
	s_mov_b64 s[12:13], 0
	s_mov_b64 s[14:15], 0
.LBB1_212:                              ;   Parent Loop BB1_188 Depth=1
                                        ; =>  This Inner Loop Header: Depth=2
	s_add_u32 s18, s4, s14
	s_addc_u32 s19, s5, s15
	s_add_u32 s14, s14, 1
	global_load_ubyte v4, v6, s[18:19]
	s_addc_u32 s15, s15, 0
	s_waitcnt vmcnt(0)
	v_and_b32_e32 v5, 0xffff, v4
	v_lshlrev_b64 v[4:5], s12, v[5:6]
	s_add_u32 s12, s12, 8
	s_addc_u32 s13, s13, 0
	s_cmp_lg_u32 s16, s14
	v_or_b32_e32 v17, v4, v17
	v_or_b32_e32 v18, v5, v18
	s_cbranch_scc1 .LBB1_212
.LBB1_213:                              ;   in Loop: Header=BB1_188 Depth=1
	s_mov_b32 s17, 0
	s_cbranch_execz .LBB1_215
	s_branch .LBB1_216
.LBB1_214:                              ;   in Loop: Header=BB1_188 Depth=1
                                        ; implicit-def: $vgpr17_vgpr18
                                        ; implicit-def: $sgpr17
.LBB1_215:                              ;   in Loop: Header=BB1_188 Depth=1
	global_load_dwordx2 v[17:18], v6, s[4:5]
	s_add_i32 s17, s16, -8
	s_add_u32 s4, s4, 8
	s_addc_u32 s5, s5, 0
.LBB1_216:                              ;   in Loop: Header=BB1_188 Depth=1
	s_cmp_gt_u32 s17, 7
	s_cbranch_scc1 .LBB1_221
; %bb.217:                              ;   in Loop: Header=BB1_188 Depth=1
	v_mov_b32_e32 v19, 0
	v_mov_b32_e32 v20, 0
	s_cmp_eq_u32 s17, 0
	s_cbranch_scc1 .LBB1_220
; %bb.218:                              ;   in Loop: Header=BB1_188 Depth=1
	s_mov_b64 s[12:13], 0
	s_mov_b64 s[14:15], 0
.LBB1_219:                              ;   Parent Loop BB1_188 Depth=1
                                        ; =>  This Inner Loop Header: Depth=2
	s_add_u32 s18, s4, s14
	s_addc_u32 s19, s5, s15
	s_add_u32 s14, s14, 1
	global_load_ubyte v4, v6, s[18:19]
	s_addc_u32 s15, s15, 0
	s_waitcnt vmcnt(0)
	v_and_b32_e32 v5, 0xffff, v4
	v_lshlrev_b64 v[4:5], s12, v[5:6]
	s_add_u32 s12, s12, 8
	s_addc_u32 s13, s13, 0
	s_cmp_lg_u32 s17, s14
	v_or_b32_e32 v19, v4, v19
	v_or_b32_e32 v20, v5, v20
	s_cbranch_scc1 .LBB1_219
.LBB1_220:                              ;   in Loop: Header=BB1_188 Depth=1
	s_mov_b32 s16, 0
	s_cbranch_execz .LBB1_222
	s_branch .LBB1_223
.LBB1_221:                              ;   in Loop: Header=BB1_188 Depth=1
                                        ; implicit-def: $sgpr16
.LBB1_222:                              ;   in Loop: Header=BB1_188 Depth=1
	global_load_dwordx2 v[19:20], v6, s[4:5]
	s_add_i32 s16, s17, -8
	s_add_u32 s4, s4, 8
	s_addc_u32 s5, s5, 0
.LBB1_223:                              ;   in Loop: Header=BB1_188 Depth=1
	s_cmp_gt_u32 s16, 7
	s_cbranch_scc1 .LBB1_228
; %bb.224:                              ;   in Loop: Header=BB1_188 Depth=1
	v_mov_b32_e32 v21, 0
	v_mov_b32_e32 v22, 0
	s_cmp_eq_u32 s16, 0
	s_cbranch_scc1 .LBB1_227
; %bb.225:                              ;   in Loop: Header=BB1_188 Depth=1
	s_mov_b64 s[12:13], 0
	s_mov_b64 s[14:15], 0
.LBB1_226:                              ;   Parent Loop BB1_188 Depth=1
                                        ; =>  This Inner Loop Header: Depth=2
	s_add_u32 s18, s4, s14
	s_addc_u32 s19, s5, s15
	s_add_u32 s14, s14, 1
	global_load_ubyte v4, v6, s[18:19]
	s_addc_u32 s15, s15, 0
	s_waitcnt vmcnt(0)
	v_and_b32_e32 v5, 0xffff, v4
	v_lshlrev_b64 v[4:5], s12, v[5:6]
	s_add_u32 s12, s12, 8
	s_addc_u32 s13, s13, 0
	s_cmp_lg_u32 s16, s14
	v_or_b32_e32 v21, v4, v21
	v_or_b32_e32 v22, v5, v22
	s_cbranch_scc1 .LBB1_226
.LBB1_227:                              ;   in Loop: Header=BB1_188 Depth=1
	s_mov_b32 s17, 0
	s_cbranch_execz .LBB1_229
	s_branch .LBB1_230
.LBB1_228:                              ;   in Loop: Header=BB1_188 Depth=1
                                        ; implicit-def: $vgpr21_vgpr22
                                        ; implicit-def: $sgpr17
.LBB1_229:                              ;   in Loop: Header=BB1_188 Depth=1
	global_load_dwordx2 v[21:22], v6, s[4:5]
	s_add_i32 s17, s16, -8
	s_add_u32 s4, s4, 8
	s_addc_u32 s5, s5, 0
.LBB1_230:                              ;   in Loop: Header=BB1_188 Depth=1
	s_cmp_gt_u32 s17, 7
	s_cbranch_scc1 .LBB1_235
; %bb.231:                              ;   in Loop: Header=BB1_188 Depth=1
	v_mov_b32_e32 v23, 0
	v_mov_b32_e32 v24, 0
	s_cmp_eq_u32 s17, 0
	s_cbranch_scc1 .LBB1_234
; %bb.232:                              ;   in Loop: Header=BB1_188 Depth=1
	s_mov_b64 s[12:13], 0
	s_mov_b64 s[14:15], s[4:5]
.LBB1_233:                              ;   Parent Loop BB1_188 Depth=1
                                        ; =>  This Inner Loop Header: Depth=2
	global_load_ubyte v4, v6, s[14:15]
	s_add_i32 s17, s17, -1
	s_waitcnt vmcnt(0)
	v_and_b32_e32 v5, 0xffff, v4
	v_lshlrev_b64 v[4:5], s12, v[5:6]
	s_add_u32 s12, s12, 8
	s_addc_u32 s13, s13, 0
	s_add_u32 s14, s14, 1
	s_addc_u32 s15, s15, 0
	s_cmp_lg_u32 s17, 0
	v_or_b32_e32 v23, v4, v23
	v_or_b32_e32 v24, v5, v24
	s_cbranch_scc1 .LBB1_233
.LBB1_234:                              ;   in Loop: Header=BB1_188 Depth=1
	s_cbranch_execz .LBB1_236
	s_branch .LBB1_237
.LBB1_235:                              ;   in Loop: Header=BB1_188 Depth=1
.LBB1_236:                              ;   in Loop: Header=BB1_188 Depth=1
	global_load_dwordx2 v[23:24], v6, s[4:5]
.LBB1_237:                              ;   in Loop: Header=BB1_188 Depth=1
	v_readfirstlane_b32 s4, v39
	s_waitcnt vmcnt(0)
	v_mov_b32_e32 v4, 0
	v_mov_b32_e32 v5, 0
	v_cmp_eq_u32_e64 s4, s4, v39
	s_and_saveexec_b32 s5, s4
	s_cbranch_execz .LBB1_243
; %bb.238:                              ;   in Loop: Header=BB1_188 Depth=1
	global_load_dwordx2 v[27:28], v6, s[24:25] offset:24 glc dlc
	s_waitcnt vmcnt(0)
	buffer_gl1_inv
	buffer_gl0_inv
	s_clause 0x1
	global_load_dwordx2 v[4:5], v6, s[24:25] offset:40
	global_load_dwordx2 v[9:10], v6, s[24:25]
	s_mov_b32 s12, exec_lo
	s_waitcnt vmcnt(1)
	v_and_b32_e32 v5, v5, v28
	v_and_b32_e32 v4, v4, v27
	v_mul_lo_u32 v5, v5, 24
	v_mul_hi_u32 v25, v4, 24
	v_mul_lo_u32 v4, v4, 24
	v_add_nc_u32_e32 v5, v25, v5
	s_waitcnt vmcnt(0)
	v_add_co_u32 v4, vcc_lo, v9, v4
	v_add_co_ci_u32_e32 v5, vcc_lo, v10, v5, vcc_lo
	global_load_dwordx2 v[25:26], v[4:5], off glc dlc
	s_waitcnt vmcnt(0)
	global_atomic_cmpswap_x2 v[4:5], v6, v[25:28], s[24:25] offset:24 glc
	s_waitcnt vmcnt(0)
	buffer_gl1_inv
	buffer_gl0_inv
	v_cmpx_ne_u64_e64 v[4:5], v[27:28]
	s_cbranch_execz .LBB1_242
; %bb.239:                              ;   in Loop: Header=BB1_188 Depth=1
	s_mov_b32 s13, 0
	.p2align	6
.LBB1_240:                              ;   Parent Loop BB1_188 Depth=1
                                        ; =>  This Inner Loop Header: Depth=2
	s_sleep 1
	s_clause 0x1
	global_load_dwordx2 v[9:10], v6, s[24:25] offset:40
	global_load_dwordx2 v[25:26], v6, s[24:25]
	v_mov_b32_e32 v28, v5
	v_mov_b32_e32 v27, v4
	s_waitcnt vmcnt(1)
	v_and_b32_e32 v4, v9, v27
	v_and_b32_e32 v9, v10, v28
	s_waitcnt vmcnt(0)
	v_mad_u64_u32 v[4:5], null, v4, 24, v[25:26]
	v_mad_u64_u32 v[9:10], null, v9, 24, v[5:6]
	v_mov_b32_e32 v5, v9
	global_load_dwordx2 v[25:26], v[4:5], off glc dlc
	s_waitcnt vmcnt(0)
	global_atomic_cmpswap_x2 v[4:5], v6, v[25:28], s[24:25] offset:24 glc
	s_waitcnt vmcnt(0)
	buffer_gl1_inv
	buffer_gl0_inv
	v_cmp_eq_u64_e32 vcc_lo, v[4:5], v[27:28]
	s_or_b32 s13, vcc_lo, s13
	s_andn2_b32 exec_lo, exec_lo, s13
	s_cbranch_execnz .LBB1_240
; %bb.241:                              ;   in Loop: Header=BB1_188 Depth=1
	s_or_b32 exec_lo, exec_lo, s13
.LBB1_242:                              ;   in Loop: Header=BB1_188 Depth=1
	s_or_b32 exec_lo, exec_lo, s12
.LBB1_243:                              ;   in Loop: Header=BB1_188 Depth=1
	s_or_b32 exec_lo, exec_lo, s5
	s_clause 0x1
	global_load_dwordx2 v[9:10], v6, s[24:25] offset:40
	global_load_dwordx4 v[25:28], v6, s[24:25]
	v_readfirstlane_b32 s12, v4
	v_readfirstlane_b32 s13, v5
	s_mov_b32 s5, exec_lo
	s_waitcnt vmcnt(1)
	v_readfirstlane_b32 s14, v9
	v_readfirstlane_b32 s15, v10
	s_and_b64 s[14:15], s[12:13], s[14:15]
	s_mul_i32 s16, s15, 24
	s_mul_hi_u32 s17, s14, 24
	s_mul_i32 s18, s14, 24
	s_add_i32 s17, s17, s16
	s_waitcnt vmcnt(0)
	v_add_co_u32 v29, vcc_lo, v25, s18
	v_add_co_ci_u32_e32 v30, vcc_lo, s17, v26, vcc_lo
	s_and_saveexec_b32 s16, s4
	s_cbranch_execz .LBB1_245
; %bb.244:                              ;   in Loop: Header=BB1_188 Depth=1
	v_mov_b32_e32 v5, s5
	global_store_dwordx4 v[29:30], v[5:8], off offset:8
.LBB1_245:                              ;   in Loop: Header=BB1_188 Depth=1
	s_or_b32 exec_lo, exec_lo, s16
	s_lshl_b64 s[14:15], s[14:15], 12
	v_cmp_gt_u64_e64 vcc_lo, s[8:9], 56
	v_or_b32_e32 v5, v2, v32
	v_add_co_u32 v27, s5, v27, s14
	v_add_co_ci_u32_e64 v28, s5, s15, v28, s5
	s_lshl_b32 s5, s10, 2
	v_or_b32_e32 v4, 0, v3
	v_cndmask_b32_e32 v2, v5, v2, vcc_lo
	s_add_i32 s5, s5, 28
	v_readfirstlane_b32 s14, v27
	s_and_b32 s5, s5, 0x1e0
	v_cndmask_b32_e32 v10, v4, v3, vcc_lo
	v_readfirstlane_b32 s15, v28
	v_and_or_b32 v9, 0xffffff1f, v2, s5
	global_store_dwordx4 v38, v[9:12], s[14:15]
	global_store_dwordx4 v38, v[13:16], s[14:15] offset:16
	global_store_dwordx4 v38, v[17:20], s[14:15] offset:32
	;; [unrolled: 1-line block ×3, first 2 shown]
	s_and_saveexec_b32 s5, s4
	s_cbranch_execz .LBB1_253
; %bb.246:                              ;   in Loop: Header=BB1_188 Depth=1
	s_clause 0x1
	global_load_dwordx2 v[13:14], v6, s[24:25] offset:32 glc dlc
	global_load_dwordx2 v[2:3], v6, s[24:25] offset:40
	v_mov_b32_e32 v11, s12
	v_mov_b32_e32 v12, s13
	s_waitcnt vmcnt(0)
	v_readfirstlane_b32 s14, v2
	v_readfirstlane_b32 s15, v3
	s_and_b64 s[14:15], s[14:15], s[12:13]
	s_mul_i32 s15, s15, 24
	s_mul_hi_u32 s16, s14, 24
	s_mul_i32 s14, s14, 24
	s_add_i32 s16, s16, s15
	v_add_co_u32 v9, vcc_lo, v25, s14
	v_add_co_ci_u32_e32 v10, vcc_lo, s16, v26, vcc_lo
	s_mov_b32 s14, exec_lo
	global_store_dwordx2 v[9:10], v[13:14], off
	s_waitcnt_vscnt null, 0x0
	global_atomic_cmpswap_x2 v[4:5], v6, v[11:14], s[24:25] offset:32 glc
	s_waitcnt vmcnt(0)
	v_cmpx_ne_u64_e64 v[4:5], v[13:14]
	s_cbranch_execz .LBB1_249
; %bb.247:                              ;   in Loop: Header=BB1_188 Depth=1
	s_mov_b32 s15, 0
.LBB1_248:                              ;   Parent Loop BB1_188 Depth=1
                                        ; =>  This Inner Loop Header: Depth=2
	v_mov_b32_e32 v2, s12
	v_mov_b32_e32 v3, s13
	s_sleep 1
	global_store_dwordx2 v[9:10], v[4:5], off
	s_waitcnt_vscnt null, 0x0
	global_atomic_cmpswap_x2 v[2:3], v6, v[2:5], s[24:25] offset:32 glc
	s_waitcnt vmcnt(0)
	v_cmp_eq_u64_e32 vcc_lo, v[2:3], v[4:5]
	v_mov_b32_e32 v5, v3
	v_mov_b32_e32 v4, v2
	s_or_b32 s15, vcc_lo, s15
	s_andn2_b32 exec_lo, exec_lo, s15
	s_cbranch_execnz .LBB1_248
.LBB1_249:                              ;   in Loop: Header=BB1_188 Depth=1
	s_or_b32 exec_lo, exec_lo, s14
	global_load_dwordx2 v[2:3], v6, s[24:25] offset:16
	s_mov_b32 s15, exec_lo
	s_mov_b32 s14, exec_lo
	v_mbcnt_lo_u32_b32 v4, s15, 0
	v_cmpx_eq_u32_e32 0, v4
	s_cbranch_execz .LBB1_251
; %bb.250:                              ;   in Loop: Header=BB1_188 Depth=1
	s_bcnt1_i32_b32 s15, s15
	v_mov_b32_e32 v5, s15
	s_waitcnt vmcnt(0)
	global_atomic_add_x2 v[2:3], v[5:6], off offset:8
.LBB1_251:                              ;   in Loop: Header=BB1_188 Depth=1
	s_or_b32 exec_lo, exec_lo, s14
	s_waitcnt vmcnt(0)
	global_load_dwordx2 v[9:10], v[2:3], off offset:16
	s_waitcnt vmcnt(0)
	v_cmp_eq_u64_e32 vcc_lo, 0, v[9:10]
	s_cbranch_vccnz .LBB1_253
; %bb.252:                              ;   in Loop: Header=BB1_188 Depth=1
	global_load_dword v5, v[2:3], off offset:24
	s_waitcnt vmcnt(0)
	v_and_b32_e32 v2, 0x7fffff, v5
	s_waitcnt_vscnt null, 0x0
	global_store_dwordx2 v[9:10], v[5:6], off
	v_readfirstlane_b32 m0, v2
	s_sendmsg sendmsg(MSG_INTERRUPT)
.LBB1_253:                              ;   in Loop: Header=BB1_188 Depth=1
	s_or_b32 exec_lo, exec_lo, s5
	v_add_co_u32 v2, vcc_lo, v27, v38
	v_add_co_ci_u32_e32 v3, vcc_lo, 0, v28, vcc_lo
	s_branch .LBB1_257
	.p2align	6
.LBB1_254:                              ;   in Loop: Header=BB1_257 Depth=2
	s_or_b32 exec_lo, exec_lo, s5
	v_readfirstlane_b32 s5, v4
	s_cmp_eq_u32 s5, 0
	s_cbranch_scc1 .LBB1_256
; %bb.255:                              ;   in Loop: Header=BB1_257 Depth=2
	s_sleep 1
	s_cbranch_execnz .LBB1_257
	s_branch .LBB1_259
	.p2align	6
.LBB1_256:                              ;   in Loop: Header=BB1_188 Depth=1
	s_branch .LBB1_259
.LBB1_257:                              ;   Parent Loop BB1_188 Depth=1
                                        ; =>  This Inner Loop Header: Depth=2
	v_mov_b32_e32 v4, 1
	s_and_saveexec_b32 s5, s4
	s_cbranch_execz .LBB1_254
; %bb.258:                              ;   in Loop: Header=BB1_257 Depth=2
	global_load_dword v4, v[29:30], off offset:20 glc dlc
	s_waitcnt vmcnt(0)
	buffer_gl1_inv
	buffer_gl0_inv
	v_and_b32_e32 v4, 1, v4
	s_branch .LBB1_254
.LBB1_259:                              ;   in Loop: Header=BB1_188 Depth=1
	global_load_dwordx4 v[2:5], v[2:3], off
	s_and_saveexec_b32 s5, s4
	s_cbranch_execz .LBB1_187
; %bb.260:                              ;   in Loop: Header=BB1_188 Depth=1
	s_clause 0x2
	global_load_dwordx2 v[4:5], v6, s[24:25] offset:40
	global_load_dwordx2 v[13:14], v6, s[24:25] offset:24 glc dlc
	global_load_dwordx2 v[11:12], v6, s[24:25]
	s_waitcnt vmcnt(2)
	v_add_co_u32 v15, vcc_lo, v4, 1
	v_add_co_ci_u32_e32 v16, vcc_lo, 0, v5, vcc_lo
	v_add_co_u32 v9, vcc_lo, v15, s12
	v_add_co_ci_u32_e32 v10, vcc_lo, s13, v16, vcc_lo
	v_cmp_eq_u64_e32 vcc_lo, 0, v[9:10]
	v_cndmask_b32_e32 v10, v10, v16, vcc_lo
	v_cndmask_b32_e32 v9, v9, v15, vcc_lo
	v_and_b32_e32 v5, v10, v5
	v_and_b32_e32 v4, v9, v4
	v_mul_lo_u32 v5, v5, 24
	v_mul_hi_u32 v15, v4, 24
	v_mul_lo_u32 v4, v4, 24
	v_add_nc_u32_e32 v5, v15, v5
	s_waitcnt vmcnt(0)
	v_add_co_u32 v4, vcc_lo, v11, v4
	v_mov_b32_e32 v11, v13
	v_add_co_ci_u32_e32 v5, vcc_lo, v12, v5, vcc_lo
	v_mov_b32_e32 v12, v14
	global_store_dwordx2 v[4:5], v[13:14], off
	s_waitcnt_vscnt null, 0x0
	global_atomic_cmpswap_x2 v[11:12], v6, v[9:12], s[24:25] offset:24 glc
	s_waitcnt vmcnt(0)
	v_cmp_ne_u64_e32 vcc_lo, v[11:12], v[13:14]
	s_and_b32 exec_lo, exec_lo, vcc_lo
	s_cbranch_execz .LBB1_187
; %bb.261:                              ;   in Loop: Header=BB1_188 Depth=1
	s_mov_b32 s4, 0
.LBB1_262:                              ;   Parent Loop BB1_188 Depth=1
                                        ; =>  This Inner Loop Header: Depth=2
	s_sleep 1
	global_store_dwordx2 v[4:5], v[11:12], off
	s_waitcnt_vscnt null, 0x0
	global_atomic_cmpswap_x2 v[13:14], v6, v[9:12], s[24:25] offset:24 glc
	s_waitcnt vmcnt(0)
	v_cmp_eq_u64_e32 vcc_lo, v[13:14], v[11:12]
	v_mov_b32_e32 v11, v13
	v_mov_b32_e32 v12, v14
	s_or_b32 s4, vcc_lo, s4
	s_andn2_b32 exec_lo, exec_lo, s4
	s_cbranch_execnz .LBB1_262
	s_branch .LBB1_187
.LBB1_263:
	s_branch .LBB1_292
.LBB1_264:
                                        ; implicit-def: $vgpr2_vgpr3
	s_cbranch_execz .LBB1_292
; %bb.265:
	v_readfirstlane_b32 s4, v39
	v_mov_b32_e32 v8, 0
	v_mov_b32_e32 v9, 0
	v_cmp_eq_u32_e64 s4, s4, v39
	s_and_saveexec_b32 s5, s4
	s_cbranch_execz .LBB1_271
; %bb.266:
	s_waitcnt vmcnt(0)
	v_mov_b32_e32 v2, 0
	s_mov_b32 s6, exec_lo
	global_load_dwordx2 v[5:6], v2, s[24:25] offset:24 glc dlc
	s_waitcnt vmcnt(0)
	buffer_gl1_inv
	buffer_gl0_inv
	s_clause 0x1
	global_load_dwordx2 v[3:4], v2, s[24:25] offset:40
	global_load_dwordx2 v[7:8], v2, s[24:25]
	s_waitcnt vmcnt(1)
	v_and_b32_e32 v4, v4, v6
	v_and_b32_e32 v3, v3, v5
	v_mul_lo_u32 v4, v4, 24
	v_mul_hi_u32 v9, v3, 24
	v_mul_lo_u32 v3, v3, 24
	v_add_nc_u32_e32 v4, v9, v4
	s_waitcnt vmcnt(0)
	v_add_co_u32 v3, vcc_lo, v7, v3
	v_add_co_ci_u32_e32 v4, vcc_lo, v8, v4, vcc_lo
	global_load_dwordx2 v[3:4], v[3:4], off glc dlc
	s_waitcnt vmcnt(0)
	global_atomic_cmpswap_x2 v[8:9], v2, v[3:6], s[24:25] offset:24 glc
	s_waitcnt vmcnt(0)
	buffer_gl1_inv
	buffer_gl0_inv
	v_cmpx_ne_u64_e64 v[8:9], v[5:6]
	s_cbranch_execz .LBB1_270
; %bb.267:
	s_mov_b32 s7, 0
	.p2align	6
.LBB1_268:                              ; =>This Inner Loop Header: Depth=1
	s_sleep 1
	s_clause 0x1
	global_load_dwordx2 v[3:4], v2, s[24:25] offset:40
	global_load_dwordx2 v[10:11], v2, s[24:25]
	v_mov_b32_e32 v5, v8
	v_mov_b32_e32 v6, v9
	s_waitcnt vmcnt(1)
	v_and_b32_e32 v3, v3, v5
	v_and_b32_e32 v4, v4, v6
	s_waitcnt vmcnt(0)
	v_mad_u64_u32 v[7:8], null, v3, 24, v[10:11]
	v_mov_b32_e32 v3, v8
	v_mad_u64_u32 v[3:4], null, v4, 24, v[3:4]
	v_mov_b32_e32 v8, v3
	global_load_dwordx2 v[3:4], v[7:8], off glc dlc
	s_waitcnt vmcnt(0)
	global_atomic_cmpswap_x2 v[8:9], v2, v[3:6], s[24:25] offset:24 glc
	s_waitcnt vmcnt(0)
	buffer_gl1_inv
	buffer_gl0_inv
	v_cmp_eq_u64_e32 vcc_lo, v[8:9], v[5:6]
	s_or_b32 s7, vcc_lo, s7
	s_andn2_b32 exec_lo, exec_lo, s7
	s_cbranch_execnz .LBB1_268
; %bb.269:
	s_or_b32 exec_lo, exec_lo, s7
.LBB1_270:
	s_or_b32 exec_lo, exec_lo, s6
.LBB1_271:
	s_or_b32 exec_lo, exec_lo, s5
	s_waitcnt vmcnt(0)
	v_mov_b32_e32 v2, 0
	v_readfirstlane_b32 s6, v8
	v_readfirstlane_b32 s7, v9
	s_mov_b32 s5, exec_lo
	s_clause 0x1
	global_load_dwordx2 v[10:11], v2, s[24:25] offset:40
	global_load_dwordx4 v[4:7], v2, s[24:25]
	s_waitcnt vmcnt(1)
	v_readfirstlane_b32 s8, v10
	v_readfirstlane_b32 s9, v11
	s_and_b64 s[8:9], s[6:7], s[8:9]
	s_mul_i32 s10, s9, 24
	s_mul_hi_u32 s11, s8, 24
	s_mul_i32 s12, s8, 24
	s_add_i32 s11, s11, s10
	s_waitcnt vmcnt(0)
	v_add_co_u32 v8, vcc_lo, v4, s12
	v_add_co_ci_u32_e32 v9, vcc_lo, s11, v5, vcc_lo
	s_and_saveexec_b32 s10, s4
	s_cbranch_execz .LBB1_273
; %bb.272:
	v_mov_b32_e32 v10, s5
	v_mov_b32_e32 v11, v2
	;; [unrolled: 1-line block ×4, first 2 shown]
	global_store_dwordx4 v[8:9], v[10:13], off offset:8
.LBB1_273:
	s_or_b32 exec_lo, exec_lo, s10
	s_lshl_b64 s[8:9], s[8:9], 12
	v_and_or_b32 v0, 0xffffff1f, v0, 32
	v_add_co_u32 v6, vcc_lo, v6, s8
	v_add_co_ci_u32_e32 v7, vcc_lo, s9, v7, vcc_lo
	s_mov_b32 s8, 0
	v_readfirstlane_b32 s12, v6
	s_mov_b32 s11, s8
	v_add_co_u32 v6, vcc_lo, v6, v38
	s_mov_b32 s9, s8
	s_mov_b32 s10, s8
	v_mov_b32_e32 v3, v2
	v_readfirstlane_b32 s13, v7
	v_mov_b32_e32 v13, s11
	v_add_co_ci_u32_e32 v7, vcc_lo, 0, v7, vcc_lo
	v_mov_b32_e32 v12, s10
	v_mov_b32_e32 v11, s9
	;; [unrolled: 1-line block ×3, first 2 shown]
	global_store_dwordx4 v38, v[0:3], s[12:13]
	global_store_dwordx4 v38, v[10:13], s[12:13] offset:16
	global_store_dwordx4 v38, v[10:13], s[12:13] offset:32
	;; [unrolled: 1-line block ×3, first 2 shown]
	s_and_saveexec_b32 s5, s4
	s_cbranch_execz .LBB1_281
; %bb.274:
	v_mov_b32_e32 v10, 0
	v_mov_b32_e32 v11, s6
	;; [unrolled: 1-line block ×3, first 2 shown]
	s_clause 0x1
	global_load_dwordx2 v[13:14], v10, s[24:25] offset:32 glc dlc
	global_load_dwordx2 v[0:1], v10, s[24:25] offset:40
	s_waitcnt vmcnt(0)
	v_readfirstlane_b32 s8, v0
	v_readfirstlane_b32 s9, v1
	s_and_b64 s[8:9], s[8:9], s[6:7]
	s_mul_i32 s9, s9, 24
	s_mul_hi_u32 s10, s8, 24
	s_mul_i32 s8, s8, 24
	s_add_i32 s10, s10, s9
	v_add_co_u32 v4, vcc_lo, v4, s8
	v_add_co_ci_u32_e32 v5, vcc_lo, s10, v5, vcc_lo
	s_mov_b32 s8, exec_lo
	global_store_dwordx2 v[4:5], v[13:14], off
	s_waitcnt_vscnt null, 0x0
	global_atomic_cmpswap_x2 v[2:3], v10, v[11:14], s[24:25] offset:32 glc
	s_waitcnt vmcnt(0)
	v_cmpx_ne_u64_e64 v[2:3], v[13:14]
	s_cbranch_execz .LBB1_277
; %bb.275:
	s_mov_b32 s9, 0
.LBB1_276:                              ; =>This Inner Loop Header: Depth=1
	v_mov_b32_e32 v0, s6
	v_mov_b32_e32 v1, s7
	s_sleep 1
	global_store_dwordx2 v[4:5], v[2:3], off
	s_waitcnt_vscnt null, 0x0
	global_atomic_cmpswap_x2 v[0:1], v10, v[0:3], s[24:25] offset:32 glc
	s_waitcnt vmcnt(0)
	v_cmp_eq_u64_e32 vcc_lo, v[0:1], v[2:3]
	v_mov_b32_e32 v3, v1
	v_mov_b32_e32 v2, v0
	s_or_b32 s9, vcc_lo, s9
	s_andn2_b32 exec_lo, exec_lo, s9
	s_cbranch_execnz .LBB1_276
.LBB1_277:
	s_or_b32 exec_lo, exec_lo, s8
	v_mov_b32_e32 v3, 0
	s_mov_b32 s9, exec_lo
	s_mov_b32 s8, exec_lo
	v_mbcnt_lo_u32_b32 v2, s9, 0
	global_load_dwordx2 v[0:1], v3, s[24:25] offset:16
	v_cmpx_eq_u32_e32 0, v2
	s_cbranch_execz .LBB1_279
; %bb.278:
	s_bcnt1_i32_b32 s9, s9
	v_mov_b32_e32 v2, s9
	s_waitcnt vmcnt(0)
	global_atomic_add_x2 v[0:1], v[2:3], off offset:8
.LBB1_279:
	s_or_b32 exec_lo, exec_lo, s8
	s_waitcnt vmcnt(0)
	global_load_dwordx2 v[2:3], v[0:1], off offset:16
	s_waitcnt vmcnt(0)
	v_cmp_eq_u64_e32 vcc_lo, 0, v[2:3]
	s_cbranch_vccnz .LBB1_281
; %bb.280:
	global_load_dword v0, v[0:1], off offset:24
	v_mov_b32_e32 v1, 0
	s_waitcnt vmcnt(0)
	v_and_b32_e32 v4, 0x7fffff, v0
	s_waitcnt_vscnt null, 0x0
	global_store_dwordx2 v[2:3], v[0:1], off
	v_readfirstlane_b32 m0, v4
	s_sendmsg sendmsg(MSG_INTERRUPT)
.LBB1_281:
	s_or_b32 exec_lo, exec_lo, s5
	s_branch .LBB1_285
	.p2align	6
.LBB1_282:                              ;   in Loop: Header=BB1_285 Depth=1
	s_or_b32 exec_lo, exec_lo, s5
	v_readfirstlane_b32 s5, v0
	s_cmp_eq_u32 s5, 0
	s_cbranch_scc1 .LBB1_284
; %bb.283:                              ;   in Loop: Header=BB1_285 Depth=1
	s_sleep 1
	s_cbranch_execnz .LBB1_285
	s_branch .LBB1_287
	.p2align	6
.LBB1_284:
	s_branch .LBB1_287
.LBB1_285:                              ; =>This Inner Loop Header: Depth=1
	v_mov_b32_e32 v0, 1
	s_and_saveexec_b32 s5, s4
	s_cbranch_execz .LBB1_282
; %bb.286:                              ;   in Loop: Header=BB1_285 Depth=1
	global_load_dword v0, v[8:9], off offset:20 glc dlc
	s_waitcnt vmcnt(0)
	buffer_gl1_inv
	buffer_gl0_inv
	v_and_b32_e32 v0, 1, v0
	s_branch .LBB1_282
.LBB1_287:
	global_load_dwordx2 v[2:3], v[6:7], off
	s_and_saveexec_b32 s5, s4
	s_cbranch_execz .LBB1_291
; %bb.288:
	v_mov_b32_e32 v8, 0
	s_clause 0x2
	global_load_dwordx2 v[0:1], v8, s[24:25] offset:40
	global_load_dwordx2 v[9:10], v8, s[24:25] offset:24 glc dlc
	global_load_dwordx2 v[6:7], v8, s[24:25]
	s_waitcnt vmcnt(2)
	v_add_co_u32 v11, vcc_lo, v0, 1
	v_add_co_ci_u32_e32 v12, vcc_lo, 0, v1, vcc_lo
	v_add_co_u32 v4, vcc_lo, v11, s6
	v_add_co_ci_u32_e32 v5, vcc_lo, s7, v12, vcc_lo
	v_cmp_eq_u64_e32 vcc_lo, 0, v[4:5]
	v_cndmask_b32_e32 v5, v5, v12, vcc_lo
	v_cndmask_b32_e32 v4, v4, v11, vcc_lo
	v_and_b32_e32 v1, v5, v1
	v_and_b32_e32 v0, v4, v0
	v_mul_lo_u32 v1, v1, 24
	v_mul_hi_u32 v11, v0, 24
	v_mul_lo_u32 v0, v0, 24
	v_add_nc_u32_e32 v1, v11, v1
	s_waitcnt vmcnt(0)
	v_add_co_u32 v0, vcc_lo, v6, v0
	v_mov_b32_e32 v6, v9
	v_add_co_ci_u32_e32 v1, vcc_lo, v7, v1, vcc_lo
	v_mov_b32_e32 v7, v10
	global_store_dwordx2 v[0:1], v[9:10], off
	s_waitcnt_vscnt null, 0x0
	global_atomic_cmpswap_x2 v[6:7], v8, v[4:7], s[24:25] offset:24 glc
	s_waitcnt vmcnt(0)
	v_cmp_ne_u64_e32 vcc_lo, v[6:7], v[9:10]
	s_and_b32 exec_lo, exec_lo, vcc_lo
	s_cbranch_execz .LBB1_291
; %bb.289:
	s_mov_b32 s4, 0
.LBB1_290:                              ; =>This Inner Loop Header: Depth=1
	s_sleep 1
	global_store_dwordx2 v[0:1], v[6:7], off
	s_waitcnt_vscnt null, 0x0
	global_atomic_cmpswap_x2 v[9:10], v8, v[4:7], s[24:25] offset:24 glc
	s_waitcnt vmcnt(0)
	v_cmp_eq_u64_e32 vcc_lo, v[9:10], v[6:7]
	v_mov_b32_e32 v6, v9
	v_mov_b32_e32 v7, v10
	s_or_b32 s4, vcc_lo, s4
	s_andn2_b32 exec_lo, exec_lo, s4
	s_cbranch_execnz .LBB1_290
.LBB1_291:
	s_or_b32 exec_lo, exec_lo, s5
.LBB1_292:
	v_readfirstlane_b32 s4, v39
	s_waitcnt vmcnt(0)
	v_mov_b32_e32 v0, 0
	v_mov_b32_e32 v1, 0
	v_cmp_eq_u32_e64 s4, s4, v39
	s_and_saveexec_b32 s5, s4
	s_cbranch_execz .LBB1_298
; %bb.293:
	v_mov_b32_e32 v4, 0
	s_mov_b32 s6, exec_lo
	global_load_dwordx2 v[7:8], v4, s[24:25] offset:24 glc dlc
	s_waitcnt vmcnt(0)
	buffer_gl1_inv
	buffer_gl0_inv
	s_clause 0x1
	global_load_dwordx2 v[0:1], v4, s[24:25] offset:40
	global_load_dwordx2 v[5:6], v4, s[24:25]
	s_waitcnt vmcnt(1)
	v_and_b32_e32 v1, v1, v8
	v_and_b32_e32 v0, v0, v7
	v_mul_lo_u32 v1, v1, 24
	v_mul_hi_u32 v9, v0, 24
	v_mul_lo_u32 v0, v0, 24
	v_add_nc_u32_e32 v1, v9, v1
	s_waitcnt vmcnt(0)
	v_add_co_u32 v0, vcc_lo, v5, v0
	v_add_co_ci_u32_e32 v1, vcc_lo, v6, v1, vcc_lo
	global_load_dwordx2 v[5:6], v[0:1], off glc dlc
	s_waitcnt vmcnt(0)
	global_atomic_cmpswap_x2 v[0:1], v4, v[5:8], s[24:25] offset:24 glc
	s_waitcnt vmcnt(0)
	buffer_gl1_inv
	buffer_gl0_inv
	v_cmpx_ne_u64_e64 v[0:1], v[7:8]
	s_cbranch_execz .LBB1_297
; %bb.294:
	s_mov_b32 s7, 0
	.p2align	6
.LBB1_295:                              ; =>This Inner Loop Header: Depth=1
	s_sleep 1
	s_clause 0x1
	global_load_dwordx2 v[5:6], v4, s[24:25] offset:40
	global_load_dwordx2 v[9:10], v4, s[24:25]
	v_mov_b32_e32 v8, v1
	v_mov_b32_e32 v7, v0
	s_waitcnt vmcnt(1)
	v_and_b32_e32 v0, v5, v7
	v_and_b32_e32 v5, v6, v8
	s_waitcnt vmcnt(0)
	v_mad_u64_u32 v[0:1], null, v0, 24, v[9:10]
	v_mad_u64_u32 v[5:6], null, v5, 24, v[1:2]
	v_mov_b32_e32 v1, v5
	global_load_dwordx2 v[5:6], v[0:1], off glc dlc
	s_waitcnt vmcnt(0)
	global_atomic_cmpswap_x2 v[0:1], v4, v[5:8], s[24:25] offset:24 glc
	s_waitcnt vmcnt(0)
	buffer_gl1_inv
	buffer_gl0_inv
	v_cmp_eq_u64_e32 vcc_lo, v[0:1], v[7:8]
	s_or_b32 s7, vcc_lo, s7
	s_andn2_b32 exec_lo, exec_lo, s7
	s_cbranch_execnz .LBB1_295
; %bb.296:
	s_or_b32 exec_lo, exec_lo, s7
.LBB1_297:
	s_or_b32 exec_lo, exec_lo, s6
.LBB1_298:
	s_or_b32 exec_lo, exec_lo, s5
	v_mov_b32_e32 v11, 0
	v_readfirstlane_b32 s6, v0
	v_readfirstlane_b32 s7, v1
	s_mov_b32 s5, exec_lo
	s_clause 0x1
	global_load_dwordx2 v[4:5], v11, s[24:25] offset:40
	global_load_dwordx4 v[6:9], v11, s[24:25]
	s_waitcnt vmcnt(1)
	v_readfirstlane_b32 s8, v4
	v_readfirstlane_b32 s9, v5
	s_and_b64 s[8:9], s[6:7], s[8:9]
	s_mul_i32 s10, s9, 24
	s_mul_hi_u32 s11, s8, 24
	s_mul_i32 s12, s8, 24
	s_add_i32 s11, s11, s10
	s_waitcnt vmcnt(0)
	v_add_co_u32 v14, vcc_lo, v6, s12
	v_add_co_ci_u32_e32 v15, vcc_lo, s11, v7, vcc_lo
	s_and_saveexec_b32 s10, s4
	s_cbranch_execz .LBB1_300
; %bb.299:
	v_mov_b32_e32 v10, s5
	v_mov_b32_e32 v12, 2
	;; [unrolled: 1-line block ×3, first 2 shown]
	global_store_dwordx4 v[14:15], v[10:13], off offset:8
.LBB1_300:
	s_or_b32 exec_lo, exec_lo, s10
	s_lshl_b64 s[8:9], s[8:9], 12
	v_and_or_b32 v2, 0xffffff1d, v2, 34
	v_add_co_u32 v0, vcc_lo, v8, s8
	v_add_co_ci_u32_e32 v1, vcc_lo, s9, v9, vcc_lo
	s_mov_b32 s8, 0
	s_waitcnt lgkmcnt(0)
	v_ashrrev_i32_e32 v5, 31, v31
	s_mov_b32 s9, s8
	s_mov_b32 s10, s8
	;; [unrolled: 1-line block ×3, first 2 shown]
	v_mov_b32_e32 v4, v31
	v_readfirstlane_b32 s12, v0
	v_readfirstlane_b32 s13, v1
	v_mov_b32_e32 v8, s8
	v_mov_b32_e32 v9, s9
	;; [unrolled: 1-line block ×4, first 2 shown]
	global_store_dwordx4 v38, v[2:5], s[12:13]
	global_store_dwordx4 v38, v[8:11], s[12:13] offset:16
	global_store_dwordx4 v38, v[8:11], s[12:13] offset:32
	global_store_dwordx4 v38, v[8:11], s[12:13] offset:48
	s_and_saveexec_b32 s5, s4
	s_cbranch_execz .LBB1_308
; %bb.301:
	v_mov_b32_e32 v8, 0
	v_mov_b32_e32 v9, s6
	;; [unrolled: 1-line block ×3, first 2 shown]
	s_clause 0x1
	global_load_dwordx2 v[11:12], v8, s[24:25] offset:32 glc dlc
	global_load_dwordx2 v[0:1], v8, s[24:25] offset:40
	s_waitcnt vmcnt(0)
	v_readfirstlane_b32 s8, v0
	v_readfirstlane_b32 s9, v1
	s_and_b64 s[8:9], s[8:9], s[6:7]
	s_mul_i32 s9, s9, 24
	s_mul_hi_u32 s10, s8, 24
	s_mul_i32 s8, s8, 24
	s_add_i32 s10, s10, s9
	v_add_co_u32 v4, vcc_lo, v6, s8
	v_add_co_ci_u32_e32 v5, vcc_lo, s10, v7, vcc_lo
	s_mov_b32 s8, exec_lo
	global_store_dwordx2 v[4:5], v[11:12], off
	s_waitcnt_vscnt null, 0x0
	global_atomic_cmpswap_x2 v[2:3], v8, v[9:12], s[24:25] offset:32 glc
	s_waitcnt vmcnt(0)
	v_cmpx_ne_u64_e64 v[2:3], v[11:12]
	s_cbranch_execz .LBB1_304
; %bb.302:
	s_mov_b32 s9, 0
.LBB1_303:                              ; =>This Inner Loop Header: Depth=1
	v_mov_b32_e32 v0, s6
	v_mov_b32_e32 v1, s7
	s_sleep 1
	global_store_dwordx2 v[4:5], v[2:3], off
	s_waitcnt_vscnt null, 0x0
	global_atomic_cmpswap_x2 v[0:1], v8, v[0:3], s[24:25] offset:32 glc
	s_waitcnt vmcnt(0)
	v_cmp_eq_u64_e32 vcc_lo, v[0:1], v[2:3]
	v_mov_b32_e32 v3, v1
	v_mov_b32_e32 v2, v0
	s_or_b32 s9, vcc_lo, s9
	s_andn2_b32 exec_lo, exec_lo, s9
	s_cbranch_execnz .LBB1_303
.LBB1_304:
	s_or_b32 exec_lo, exec_lo, s8
	v_mov_b32_e32 v3, 0
	s_mov_b32 s9, exec_lo
	s_mov_b32 s8, exec_lo
	v_mbcnt_lo_u32_b32 v2, s9, 0
	global_load_dwordx2 v[0:1], v3, s[24:25] offset:16
	v_cmpx_eq_u32_e32 0, v2
	s_cbranch_execz .LBB1_306
; %bb.305:
	s_bcnt1_i32_b32 s9, s9
	v_mov_b32_e32 v2, s9
	s_waitcnt vmcnt(0)
	global_atomic_add_x2 v[0:1], v[2:3], off offset:8
.LBB1_306:
	s_or_b32 exec_lo, exec_lo, s8
	s_waitcnt vmcnt(0)
	global_load_dwordx2 v[2:3], v[0:1], off offset:16
	s_waitcnt vmcnt(0)
	v_cmp_eq_u64_e32 vcc_lo, 0, v[2:3]
	s_cbranch_vccnz .LBB1_308
; %bb.307:
	global_load_dword v0, v[0:1], off offset:24
	v_mov_b32_e32 v1, 0
	s_waitcnt vmcnt(0)
	v_and_b32_e32 v4, 0x7fffff, v0
	s_waitcnt_vscnt null, 0x0
	global_store_dwordx2 v[2:3], v[0:1], off
	v_readfirstlane_b32 m0, v4
	s_sendmsg sendmsg(MSG_INTERRUPT)
.LBB1_308:
	s_or_b32 exec_lo, exec_lo, s5
	s_branch .LBB1_312
	.p2align	6
.LBB1_309:                              ;   in Loop: Header=BB1_312 Depth=1
	s_or_b32 exec_lo, exec_lo, s5
	v_readfirstlane_b32 s5, v0
	s_cmp_eq_u32 s5, 0
	s_cbranch_scc1 .LBB1_311
; %bb.310:                              ;   in Loop: Header=BB1_312 Depth=1
	s_sleep 1
	s_cbranch_execnz .LBB1_312
	s_branch .LBB1_314
	.p2align	6
.LBB1_311:
	s_branch .LBB1_314
.LBB1_312:                              ; =>This Inner Loop Header: Depth=1
	v_mov_b32_e32 v0, 1
	s_and_saveexec_b32 s5, s4
	s_cbranch_execz .LBB1_309
; %bb.313:                              ;   in Loop: Header=BB1_312 Depth=1
	global_load_dword v0, v[14:15], off offset:20 glc dlc
	s_waitcnt vmcnt(0)
	buffer_gl1_inv
	buffer_gl0_inv
	v_and_b32_e32 v0, 1, v0
	s_branch .LBB1_309
.LBB1_314:
	s_and_saveexec_b32 s5, s4
	s_cbranch_execz .LBB1_318
; %bb.315:
	v_mov_b32_e32 v6, 0
	s_clause 0x2
	global_load_dwordx2 v[2:3], v6, s[24:25] offset:40
	global_load_dwordx2 v[7:8], v6, s[24:25] offset:24 glc dlc
	global_load_dwordx2 v[4:5], v6, s[24:25]
	s_waitcnt vmcnt(2)
	v_add_co_u32 v9, vcc_lo, v2, 1
	v_add_co_ci_u32_e32 v10, vcc_lo, 0, v3, vcc_lo
	v_add_co_u32 v0, vcc_lo, v9, s6
	v_add_co_ci_u32_e32 v1, vcc_lo, s7, v10, vcc_lo
	v_cmp_eq_u64_e32 vcc_lo, 0, v[0:1]
	v_cndmask_b32_e32 v1, v1, v10, vcc_lo
	v_cndmask_b32_e32 v0, v0, v9, vcc_lo
	v_and_b32_e32 v3, v1, v3
	v_and_b32_e32 v2, v0, v2
	v_mul_lo_u32 v3, v3, 24
	v_mul_hi_u32 v9, v2, 24
	v_mul_lo_u32 v2, v2, 24
	v_add_nc_u32_e32 v3, v9, v3
	s_waitcnt vmcnt(0)
	v_add_co_u32 v4, vcc_lo, v4, v2
	v_mov_b32_e32 v2, v7
	v_add_co_ci_u32_e32 v5, vcc_lo, v5, v3, vcc_lo
	v_mov_b32_e32 v3, v8
	global_store_dwordx2 v[4:5], v[7:8], off
	s_waitcnt_vscnt null, 0x0
	global_atomic_cmpswap_x2 v[2:3], v6, v[0:3], s[24:25] offset:24 glc
	s_waitcnt vmcnt(0)
	v_cmp_ne_u64_e32 vcc_lo, v[2:3], v[7:8]
	s_and_b32 exec_lo, exec_lo, vcc_lo
	s_cbranch_execz .LBB1_318
; %bb.316:
	s_mov_b32 s4, 0
.LBB1_317:                              ; =>This Inner Loop Header: Depth=1
	s_sleep 1
	global_store_dwordx2 v[4:5], v[2:3], off
	s_waitcnt_vscnt null, 0x0
	global_atomic_cmpswap_x2 v[7:8], v6, v[0:3], s[24:25] offset:24 glc
	s_waitcnt vmcnt(0)
	v_cmp_eq_u64_e32 vcc_lo, v[7:8], v[2:3]
	v_mov_b32_e32 v2, v7
	v_mov_b32_e32 v3, v8
	s_or_b32 s4, vcc_lo, s4
	s_andn2_b32 exec_lo, exec_lo, s4
	s_cbranch_execnz .LBB1_317
.LBB1_318:
	s_or_b32 exec_lo, exec_lo, s5
	v_readlane_b32 s30, v40, 2
	v_readlane_b32 s31, v40, 3
	;; [unrolled: 1-line block ×4, first 2 shown]
	s_or_saveexec_b32 s4, -1
	buffer_load_dword v40, off, s[0:3], s33 ; 4-byte Folded Reload
	s_mov_b32 exec_lo, s4
	s_addk_i32 s32, 0xfe00
	s_mov_b32 s33, s27
	s_waitcnt vmcnt(0) lgkmcnt(0)
	s_setpc_b64 s[30:31]
.Lfunc_end1:
	.size	_ZN8migraphx4testlsIKNS_13basic_printerIZNS_4coutEvEUlT_E_EEEERS3_S7_RKNS0_10expressionINS0_14lhs_expressionIRiNS0_3nopEEEiNS0_5equalEEE, .Lfunc_end1-_ZN8migraphx4testlsIKNS_13basic_printerIZNS_4coutEvEUlT_E_EEEERS3_S7_RKNS0_10expressionINS0_14lhs_expressionIRiNS0_3nopEEEiNS0_5equalEEE
                                        ; -- End function
	.section	.AMDGPU.csdata,"",@progbits
; Function info:
; codeLenInByte = 12136
; NumSgprs: 38
; NumVgprs: 41
; ScratchSize: 16
; MemoryBound: 0
	.text
	.p2align	2                               ; -- Begin function _ZN8migraphx4test4failEv
	.type	_ZN8migraphx4test4failEv,@function
_ZN8migraphx4test4failEv:               ; @_ZN8migraphx4test4failEv
; %bb.0:
	s_waitcnt vmcnt(0) expcnt(0) lgkmcnt(0)
	v_mov_b32_e32 v0, 0
	s_clause 0x1
	global_load_dword v1, v0, s[8:9] offset:18
	global_load_ushort v2, v0, s[8:9] offset:22
	s_clause 0x1
	s_load_dwordx2 s[4:5], s[8:9], 0x0
	s_load_dword s6, s[8:9], 0x8
	s_waitcnt vmcnt(1)
	v_cmp_ne_u16_e32 vcc_lo, 0, v1
	v_cmp_ne_u16_sdwa s7, v1, v0 src0_sel:WORD_1 src1_sel:DWORD
	s_cmp_lg_u32 vcc_lo, 0
	s_waitcnt vmcnt(0)
	v_cmp_ne_u16_e32 vcc_lo, 0, v2
	s_waitcnt lgkmcnt(0)
	s_addc_u32 s10, s4, 0
	s_cmp_lg_u32 s7, 0
	s_addc_u32 s7, s5, 0
	s_cmp_lg_u32 vcc_lo, 0
	s_mul_i32 s7, s7, s10
	s_addc_u32 s10, s6, 0
	s_mul_i32 s7, s7, s10
	s_cmp_lg_u32 s7, 1
	s_cbranch_scc1 .LBB2_3
; %bb.1:
	s_cmp_lt_u32 s14, s6
	s_cselect_b32 s6, 16, 22
	s_add_u32 s6, s8, s6
	s_addc_u32 s7, s9, 0
	s_cmp_lt_u32 s13, s5
	s_cselect_b32 s5, 14, 20
	s_add_u32 s10, s8, s5
	s_addc_u32 s11, s9, 0
	s_clause 0x1
	global_load_ushort v1, v0, s[6:7]
	global_load_ushort v2, v0, s[10:11]
	s_cmp_lt_u32 s12, s4
	s_cselect_b32 s4, 12, 18
	s_add_u32 s4, s8, s4
	s_addc_u32 s5, s9, 0
	global_load_ushort v0, v0, s[4:5]
	s_waitcnt vmcnt(1)
	v_mul_lo_u32 v1, v2, v1
	s_waitcnt vmcnt(0)
	v_mul_lo_u32 v0, v1, v0
	v_cmp_lt_u32_e32 vcc_lo, 32, v0
	s_cbranch_vccnz .LBB2_3
; %bb.2:
	s_endpgm
.LBB2_3:
	s_trap 2
.Lfunc_end2:
	.size	_ZN8migraphx4test4failEv, .Lfunc_end2-_ZN8migraphx4test4failEv
                                        ; -- End function
	.section	.AMDGPU.csdata,"",@progbits
; Function info:
; codeLenInByte = 232
; NumSgprs: 17
; NumVgprs: 3
; ScratchSize: 0
; MemoryBound: 0
	.text
	.p2align	2                               ; -- Begin function _ZN8migraphx4test12test_manager6failedINS0_10expressionINS0_14lhs_expressionIRiNS0_3nopEEEiNS0_5equalEEEPFvvEEEvRKT_PKcSG_SG_iT0_
	.type	_ZN8migraphx4test12test_manager6failedINS0_10expressionINS0_14lhs_expressionIRiNS0_3nopEEEiNS0_5equalEEEPFvvEEEvRKT_PKcSG_SG_iT0_,@function
_ZN8migraphx4test12test_manager6failedINS0_10expressionINS0_14lhs_expressionIRiNS0_3nopEEEiNS0_5equalEEEPFvvEEEvRKT_PKcSG_SG_iT0_: ; @_ZN8migraphx4test12test_manager6failedINS0_10expressionINS0_14lhs_expressionIRiNS0_3nopEEEiNS0_5equalEEEPFvvEEEvRKT_PKcSG_SG_iT0_
; %bb.0:
	s_waitcnt vmcnt(0) expcnt(0) lgkmcnt(0)
	s_mov_b32 s4, s33
	s_mov_b32 s33, s32
	s_or_saveexec_b32 s5, -1
	buffer_store_dword v41, off, s[0:3], s33 ; 4-byte Folded Spill
	s_mov_b32 exec_lo, s5
	v_writelane_b32 v41, s4, 2
	v_writelane_b32 v41, s30, 0
	s_addk_i32 s32, 0x200
	v_writelane_b32 v41, s31, 1
	v_mov_b32_e32 v37, v3
	v_mov_b32_e32 v36, v2
	;; [unrolled: 1-line block ×4, first 2 shown]
	s_mov_b32 s40, exec_lo
	flat_load_dwordx3 v[0:2], v[36:37]
	s_waitcnt vmcnt(0) lgkmcnt(0)
	flat_load_dword v0, v[0:1]
	s_waitcnt vmcnt(0) lgkmcnt(0)
	v_cmpx_ne_u32_e64 v0, v2
	s_cbranch_execz .LBB3_1690
; %bb.1:
	v_and_b32_e32 v0, 0x3ff, v31
	s_mov_b32 s41, exec_lo
	v_cmpx_eq_u32_e32 0, v0
	s_cbranch_execz .LBB3_1689
; %bb.2:
	s_load_dwordx2 s[38:39], s[8:9], 0x50
	v_mbcnt_lo_u32_b32 v51, -1, 0
	v_mov_b32_e32 v11, 0
	v_mov_b32_e32 v12, 0
	v_readfirstlane_b32 s4, v51
	v_cmp_eq_u32_e64 s4, s4, v51
	s_and_saveexec_b32 s5, s4
	s_cbranch_execz .LBB3_8
; %bb.3:
	v_mov_b32_e32 v0, 0
	s_mov_b32 s6, exec_lo
	s_waitcnt lgkmcnt(0)
	global_load_dwordx2 v[13:14], v0, s[38:39] offset:24 glc dlc
	s_waitcnt vmcnt(0)
	buffer_gl1_inv
	buffer_gl0_inv
	s_clause 0x1
	global_load_dwordx2 v[1:2], v0, s[38:39] offset:40
	global_load_dwordx2 v[9:10], v0, s[38:39]
	s_waitcnt vmcnt(1)
	v_and_b32_e32 v2, v2, v14
	v_and_b32_e32 v1, v1, v13
	v_mul_lo_u32 v2, v2, 24
	v_mul_hi_u32 v3, v1, 24
	v_mul_lo_u32 v1, v1, 24
	v_add_nc_u32_e32 v2, v3, v2
	s_waitcnt vmcnt(0)
	v_add_co_u32 v1, vcc_lo, v9, v1
	v_add_co_ci_u32_e32 v2, vcc_lo, v10, v2, vcc_lo
	global_load_dwordx2 v[11:12], v[1:2], off glc dlc
	s_waitcnt vmcnt(0)
	global_atomic_cmpswap_x2 v[11:12], v0, v[11:14], s[38:39] offset:24 glc
	s_waitcnt vmcnt(0)
	buffer_gl1_inv
	buffer_gl0_inv
	v_cmpx_ne_u64_e64 v[11:12], v[13:14]
	s_cbranch_execz .LBB3_7
; %bb.4:
	s_mov_b32 s7, 0
	.p2align	6
.LBB3_5:                                ; =>This Inner Loop Header: Depth=1
	s_sleep 1
	s_clause 0x1
	global_load_dwordx2 v[1:2], v0, s[38:39] offset:40
	global_load_dwordx2 v[9:10], v0, s[38:39]
	v_mov_b32_e32 v14, v12
	v_mov_b32_e32 v13, v11
	s_waitcnt vmcnt(1)
	v_and_b32_e32 v1, v1, v13
	v_and_b32_e32 v2, v2, v14
	s_waitcnt vmcnt(0)
	v_mad_u64_u32 v[9:10], null, v1, 24, v[9:10]
	v_mov_b32_e32 v1, v10
	v_mad_u64_u32 v[1:2], null, v2, 24, v[1:2]
	v_mov_b32_e32 v10, v1
	global_load_dwordx2 v[11:12], v[9:10], off glc dlc
	s_waitcnt vmcnt(0)
	global_atomic_cmpswap_x2 v[11:12], v0, v[11:14], s[38:39] offset:24 glc
	s_waitcnt vmcnt(0)
	buffer_gl1_inv
	buffer_gl0_inv
	v_cmp_eq_u64_e32 vcc_lo, v[11:12], v[13:14]
	s_or_b32 s7, vcc_lo, s7
	s_andn2_b32 exec_lo, exec_lo, s7
	s_cbranch_execnz .LBB3_5
; %bb.6:
	s_or_b32 exec_lo, exec_lo, s7
.LBB3_7:
	s_or_b32 exec_lo, exec_lo, s6
.LBB3_8:
	s_or_b32 exec_lo, exec_lo, s5
	v_mov_b32_e32 v10, 0
	v_readfirstlane_b32 s6, v11
	v_readfirstlane_b32 s7, v12
	s_mov_b32 s5, exec_lo
	s_waitcnt lgkmcnt(0)
	s_clause 0x1
	global_load_dwordx2 v[13:14], v10, s[38:39] offset:40
	global_load_dwordx4 v[0:3], v10, s[38:39]
	s_waitcnt vmcnt(1)
	v_readfirstlane_b32 s10, v13
	v_readfirstlane_b32 s11, v14
	s_and_b64 s[10:11], s[6:7], s[10:11]
	s_mul_i32 s15, s11, 24
	s_mul_hi_u32 s16, s10, 24
	s_mul_i32 s17, s10, 24
	s_add_i32 s16, s16, s15
	s_waitcnt vmcnt(0)
	v_add_co_u32 v13, vcc_lo, v0, s17
	v_add_co_ci_u32_e32 v14, vcc_lo, s16, v1, vcc_lo
	s_and_saveexec_b32 s15, s4
	s_cbranch_execz .LBB3_10
; %bb.9:
	v_mov_b32_e32 v9, s5
	v_mov_b32_e32 v11, 2
	;; [unrolled: 1-line block ×3, first 2 shown]
	global_store_dwordx4 v[13:14], v[9:12], off offset:8
.LBB3_10:
	s_or_b32 exec_lo, exec_lo, s15
	s_lshl_b64 s[10:11], s[10:11], 12
	v_lshlrev_b32_e32 v50, 6, v51
	v_add_co_u32 v2, vcc_lo, v2, s10
	v_add_co_ci_u32_e32 v3, vcc_lo, s11, v3, vcc_lo
	s_mov_b32 s16, 0
	v_add_co_u32 v15, vcc_lo, v2, v50
	s_mov_b32 s19, s16
	s_mov_b32 s17, s16
	s_mov_b32 s18, s16
	v_mov_b32_e32 v9, 33
	v_mov_b32_e32 v11, v10
	;; [unrolled: 1-line block ×3, first 2 shown]
	v_readfirstlane_b32 s10, v2
	v_readfirstlane_b32 s11, v3
	v_mov_b32_e32 v20, s19
	v_add_co_ci_u32_e32 v16, vcc_lo, 0, v3, vcc_lo
	v_mov_b32_e32 v19, s18
	v_mov_b32_e32 v18, s17
	;; [unrolled: 1-line block ×3, first 2 shown]
	global_store_dwordx4 v50, v[9:12], s[10:11]
	global_store_dwordx4 v50, v[17:20], s[10:11] offset:16
	global_store_dwordx4 v50, v[17:20], s[10:11] offset:32
	;; [unrolled: 1-line block ×3, first 2 shown]
	s_and_saveexec_b32 s5, s4
	s_cbranch_execz .LBB3_18
; %bb.11:
	v_mov_b32_e32 v11, 0
	v_mov_b32_e32 v17, s6
	;; [unrolled: 1-line block ×3, first 2 shown]
	s_mov_b32 s10, exec_lo
	s_clause 0x1
	global_load_dwordx2 v[19:20], v11, s[38:39] offset:32 glc dlc
	global_load_dwordx2 v[2:3], v11, s[38:39] offset:40
	s_waitcnt vmcnt(0)
	v_and_b32_e32 v3, s7, v3
	v_and_b32_e32 v2, s6, v2
	v_mul_lo_u32 v3, v3, 24
	v_mul_hi_u32 v9, v2, 24
	v_mul_lo_u32 v2, v2, 24
	v_add_nc_u32_e32 v3, v9, v3
	v_add_co_u32 v9, vcc_lo, v0, v2
	v_add_co_ci_u32_e32 v10, vcc_lo, v1, v3, vcc_lo
	global_store_dwordx2 v[9:10], v[19:20], off
	s_waitcnt_vscnt null, 0x0
	global_atomic_cmpswap_x2 v[2:3], v11, v[17:20], s[38:39] offset:32 glc
	s_waitcnt vmcnt(0)
	v_cmpx_ne_u64_e64 v[2:3], v[19:20]
	s_cbranch_execz .LBB3_14
; %bb.12:
	s_mov_b32 s11, 0
.LBB3_13:                               ; =>This Inner Loop Header: Depth=1
	v_mov_b32_e32 v0, s6
	v_mov_b32_e32 v1, s7
	s_sleep 1
	global_store_dwordx2 v[9:10], v[2:3], off
	s_waitcnt_vscnt null, 0x0
	global_atomic_cmpswap_x2 v[0:1], v11, v[0:3], s[38:39] offset:32 glc
	s_waitcnt vmcnt(0)
	v_cmp_eq_u64_e32 vcc_lo, v[0:1], v[2:3]
	v_mov_b32_e32 v3, v1
	v_mov_b32_e32 v2, v0
	s_or_b32 s11, vcc_lo, s11
	s_andn2_b32 exec_lo, exec_lo, s11
	s_cbranch_execnz .LBB3_13
.LBB3_14:
	s_or_b32 exec_lo, exec_lo, s10
	v_mov_b32_e32 v3, 0
	s_mov_b32 s11, exec_lo
	s_mov_b32 s10, exec_lo
	v_mbcnt_lo_u32_b32 v2, s11, 0
	global_load_dwordx2 v[0:1], v3, s[38:39] offset:16
	v_cmpx_eq_u32_e32 0, v2
	s_cbranch_execz .LBB3_16
; %bb.15:
	s_bcnt1_i32_b32 s11, s11
	v_mov_b32_e32 v2, s11
	s_waitcnt vmcnt(0)
	global_atomic_add_x2 v[0:1], v[2:3], off offset:8
.LBB3_16:
	s_or_b32 exec_lo, exec_lo, s10
	s_waitcnt vmcnt(0)
	global_load_dwordx2 v[2:3], v[0:1], off offset:16
	s_waitcnt vmcnt(0)
	v_cmp_eq_u64_e32 vcc_lo, 0, v[2:3]
	s_cbranch_vccnz .LBB3_18
; %bb.17:
	global_load_dword v0, v[0:1], off offset:24
	v_mov_b32_e32 v1, 0
	s_waitcnt vmcnt(0)
	v_and_b32_e32 v9, 0x7fffff, v0
	s_waitcnt_vscnt null, 0x0
	global_store_dwordx2 v[2:3], v[0:1], off
	v_readfirstlane_b32 m0, v9
	s_sendmsg sendmsg(MSG_INTERRUPT)
.LBB3_18:
	s_or_b32 exec_lo, exec_lo, s5
	s_branch .LBB3_22
	.p2align	6
.LBB3_19:                               ;   in Loop: Header=BB3_22 Depth=1
	s_or_b32 exec_lo, exec_lo, s5
	v_readfirstlane_b32 s5, v0
	s_cmp_eq_u32 s5, 0
	s_cbranch_scc1 .LBB3_21
; %bb.20:                               ;   in Loop: Header=BB3_22 Depth=1
	s_sleep 1
	s_cbranch_execnz .LBB3_22
	s_branch .LBB3_24
	.p2align	6
.LBB3_21:
	s_branch .LBB3_24
.LBB3_22:                               ; =>This Inner Loop Header: Depth=1
	v_mov_b32_e32 v0, 1
	s_and_saveexec_b32 s5, s4
	s_cbranch_execz .LBB3_19
; %bb.23:                               ;   in Loop: Header=BB3_22 Depth=1
	global_load_dword v0, v[13:14], off offset:20 glc dlc
	s_waitcnt vmcnt(0)
	buffer_gl1_inv
	buffer_gl0_inv
	v_and_b32_e32 v0, 1, v0
	s_branch .LBB3_19
.LBB3_24:
	global_load_dwordx2 v[9:10], v[15:16], off
	s_and_saveexec_b32 s5, s4
	s_cbranch_execz .LBB3_28
; %bb.25:
	v_mov_b32_e32 v13, 0
	s_clause 0x2
	global_load_dwordx2 v[2:3], v13, s[38:39] offset:40
	global_load_dwordx2 v[14:15], v13, s[38:39] offset:24 glc dlc
	global_load_dwordx2 v[11:12], v13, s[38:39]
	s_waitcnt vmcnt(2)
	v_add_co_u32 v16, vcc_lo, v2, 1
	v_add_co_ci_u32_e32 v17, vcc_lo, 0, v3, vcc_lo
	v_add_co_u32 v0, vcc_lo, v16, s6
	v_add_co_ci_u32_e32 v1, vcc_lo, s7, v17, vcc_lo
	v_cmp_eq_u64_e32 vcc_lo, 0, v[0:1]
	v_cndmask_b32_e32 v1, v1, v17, vcc_lo
	v_cndmask_b32_e32 v0, v0, v16, vcc_lo
	v_and_b32_e32 v3, v1, v3
	v_and_b32_e32 v2, v0, v2
	v_mul_lo_u32 v3, v3, 24
	v_mul_hi_u32 v16, v2, 24
	v_mul_lo_u32 v2, v2, 24
	v_add_nc_u32_e32 v3, v16, v3
	s_waitcnt vmcnt(0)
	v_add_co_u32 v11, vcc_lo, v11, v2
	v_mov_b32_e32 v2, v14
	v_add_co_ci_u32_e32 v12, vcc_lo, v12, v3, vcc_lo
	v_mov_b32_e32 v3, v15
	global_store_dwordx2 v[11:12], v[14:15], off
	s_waitcnt_vscnt null, 0x0
	global_atomic_cmpswap_x2 v[2:3], v13, v[0:3], s[38:39] offset:24 glc
	s_waitcnt vmcnt(0)
	v_cmp_ne_u64_e32 vcc_lo, v[2:3], v[14:15]
	s_and_b32 exec_lo, exec_lo, vcc_lo
	s_cbranch_execz .LBB3_28
; %bb.26:
	s_mov_b32 s4, 0
.LBB3_27:                               ; =>This Inner Loop Header: Depth=1
	s_sleep 1
	global_store_dwordx2 v[11:12], v[2:3], off
	s_waitcnt_vscnt null, 0x0
	global_atomic_cmpswap_x2 v[14:15], v13, v[0:3], s[38:39] offset:24 glc
	s_waitcnt vmcnt(0)
	v_cmp_eq_u64_e32 vcc_lo, v[14:15], v[2:3]
	v_mov_b32_e32 v2, v14
	v_mov_b32_e32 v3, v15
	s_or_b32 s4, vcc_lo, s4
	s_andn2_b32 exec_lo, exec_lo, s4
	s_cbranch_execnz .LBB3_27
.LBB3_28:
	s_or_b32 exec_lo, exec_lo, s5
	s_getpc_b64 s[6:7]
	s_add_u32 s6, s6, .str.8@rel32@lo+4
	s_addc_u32 s7, s7, .str.8@rel32@hi+12
	s_cmp_lg_u64 s[6:7], 0
	s_cselect_b32 s15, -1, 0
	s_and_b32 vcc_lo, exec_lo, s15
	s_cbranch_vccz .LBB3_107
; %bb.29:
	s_waitcnt vmcnt(0)
	v_and_b32_e32 v33, 2, v9
	v_mov_b32_e32 v12, 0
	v_and_b32_e32 v0, -3, v9
	v_mov_b32_e32 v1, v10
	v_mov_b32_e32 v13, 2
	;; [unrolled: 1-line block ×3, first 2 shown]
	s_mov_b64 s[10:11], 3
	s_branch .LBB3_31
.LBB3_30:                               ;   in Loop: Header=BB3_31 Depth=1
	s_or_b32 exec_lo, exec_lo, s5
	s_sub_u32 s10, s10, s16
	s_subb_u32 s11, s11, s17
	s_add_u32 s6, s6, s16
	s_addc_u32 s7, s7, s17
	s_cmp_lg_u64 s[10:11], 0
	s_cbranch_scc0 .LBB3_106
.LBB3_31:                               ; =>This Loop Header: Depth=1
                                        ;     Child Loop BB3_40 Depth 2
                                        ;     Child Loop BB3_36 Depth 2
	;; [unrolled: 1-line block ×11, first 2 shown]
	v_cmp_lt_u64_e64 s4, s[10:11], 56
	v_cmp_gt_u64_e64 s5, s[10:11], 7
                                        ; implicit-def: $vgpr2_vgpr3
                                        ; implicit-def: $sgpr22
	s_and_b32 s4, s4, exec_lo
	s_cselect_b32 s17, s11, 0
	s_cselect_b32 s16, s10, 56
	s_and_b32 vcc_lo, exec_lo, s5
	s_mov_b32 s4, -1
	s_cbranch_vccz .LBB3_38
; %bb.32:                               ;   in Loop: Header=BB3_31 Depth=1
	s_andn2_b32 vcc_lo, exec_lo, s4
	s_mov_b64 s[4:5], s[6:7]
	s_cbranch_vccz .LBB3_42
.LBB3_33:                               ;   in Loop: Header=BB3_31 Depth=1
	s_cmp_gt_u32 s22, 7
	s_cbranch_scc1 .LBB3_43
.LBB3_34:                               ;   in Loop: Header=BB3_31 Depth=1
	v_mov_b32_e32 v15, 0
	v_mov_b32_e32 v16, 0
	s_cmp_eq_u32 s22, 0
	s_cbranch_scc1 .LBB3_37
; %bb.35:                               ;   in Loop: Header=BB3_31 Depth=1
	s_mov_b64 s[18:19], 0
	s_mov_b64 s[20:21], 0
.LBB3_36:                               ;   Parent Loop BB3_31 Depth=1
                                        ; =>  This Inner Loop Header: Depth=2
	s_add_u32 s24, s4, s20
	s_addc_u32 s25, s5, s21
	s_add_u32 s20, s20, 1
	global_load_ubyte v11, v12, s[24:25]
	s_addc_u32 s21, s21, 0
	s_waitcnt vmcnt(0)
	v_and_b32_e32 v11, 0xffff, v11
	v_lshlrev_b64 v[17:18], s18, v[11:12]
	s_add_u32 s18, s18, 8
	s_addc_u32 s19, s19, 0
	s_cmp_lg_u32 s22, s20
	v_or_b32_e32 v15, v17, v15
	v_or_b32_e32 v16, v18, v16
	s_cbranch_scc1 .LBB3_36
.LBB3_37:                               ;   in Loop: Header=BB3_31 Depth=1
	s_mov_b32 s23, 0
	s_cbranch_execz .LBB3_44
	s_branch .LBB3_45
.LBB3_38:                               ;   in Loop: Header=BB3_31 Depth=1
	s_waitcnt vmcnt(0)
	v_mov_b32_e32 v2, 0
	v_mov_b32_e32 v3, 0
	s_cmp_eq_u64 s[10:11], 0
	s_mov_b64 s[4:5], 0
	s_cbranch_scc1 .LBB3_41
; %bb.39:                               ;   in Loop: Header=BB3_31 Depth=1
	v_mov_b32_e32 v2, 0
	v_mov_b32_e32 v3, 0
	s_lshl_b64 s[18:19], s[16:17], 3
	s_mov_b64 s[20:21], s[6:7]
.LBB3_40:                               ;   Parent Loop BB3_31 Depth=1
                                        ; =>  This Inner Loop Header: Depth=2
	global_load_ubyte v11, v12, s[20:21]
	s_waitcnt vmcnt(0)
	v_and_b32_e32 v11, 0xffff, v11
	v_lshlrev_b64 v[15:16], s4, v[11:12]
	s_add_u32 s4, s4, 8
	s_addc_u32 s5, s5, 0
	s_add_u32 s20, s20, 1
	s_addc_u32 s21, s21, 0
	s_cmp_lg_u32 s18, s4
	v_or_b32_e32 v2, v15, v2
	v_or_b32_e32 v3, v16, v3
	s_cbranch_scc1 .LBB3_40
.LBB3_41:                               ;   in Loop: Header=BB3_31 Depth=1
	s_mov_b32 s22, 0
	s_mov_b64 s[4:5], s[6:7]
	s_cbranch_execnz .LBB3_33
.LBB3_42:                               ;   in Loop: Header=BB3_31 Depth=1
	global_load_dwordx2 v[2:3], v12, s[6:7]
	s_add_i32 s22, s16, -8
	s_add_u32 s4, s6, 8
	s_addc_u32 s5, s7, 0
	s_cmp_gt_u32 s22, 7
	s_cbranch_scc0 .LBB3_34
.LBB3_43:                               ;   in Loop: Header=BB3_31 Depth=1
                                        ; implicit-def: $vgpr15_vgpr16
                                        ; implicit-def: $sgpr23
.LBB3_44:                               ;   in Loop: Header=BB3_31 Depth=1
	global_load_dwordx2 v[15:16], v12, s[4:5]
	s_add_i32 s23, s22, -8
	s_add_u32 s4, s4, 8
	s_addc_u32 s5, s5, 0
.LBB3_45:                               ;   in Loop: Header=BB3_31 Depth=1
	s_cmp_gt_u32 s23, 7
	s_cbranch_scc1 .LBB3_50
; %bb.46:                               ;   in Loop: Header=BB3_31 Depth=1
	v_mov_b32_e32 v17, 0
	v_mov_b32_e32 v18, 0
	s_cmp_eq_u32 s23, 0
	s_cbranch_scc1 .LBB3_49
; %bb.47:                               ;   in Loop: Header=BB3_31 Depth=1
	s_mov_b64 s[18:19], 0
	s_mov_b64 s[20:21], 0
.LBB3_48:                               ;   Parent Loop BB3_31 Depth=1
                                        ; =>  This Inner Loop Header: Depth=2
	s_add_u32 s24, s4, s20
	s_addc_u32 s25, s5, s21
	s_add_u32 s20, s20, 1
	global_load_ubyte v11, v12, s[24:25]
	s_addc_u32 s21, s21, 0
	s_waitcnt vmcnt(0)
	v_and_b32_e32 v11, 0xffff, v11
	v_lshlrev_b64 v[19:20], s18, v[11:12]
	s_add_u32 s18, s18, 8
	s_addc_u32 s19, s19, 0
	s_cmp_lg_u32 s23, s20
	v_or_b32_e32 v17, v19, v17
	v_or_b32_e32 v18, v20, v18
	s_cbranch_scc1 .LBB3_48
.LBB3_49:                               ;   in Loop: Header=BB3_31 Depth=1
	s_mov_b32 s22, 0
	s_cbranch_execz .LBB3_51
	s_branch .LBB3_52
.LBB3_50:                               ;   in Loop: Header=BB3_31 Depth=1
                                        ; implicit-def: $sgpr22
.LBB3_51:                               ;   in Loop: Header=BB3_31 Depth=1
	global_load_dwordx2 v[17:18], v12, s[4:5]
	s_add_i32 s22, s23, -8
	s_add_u32 s4, s4, 8
	s_addc_u32 s5, s5, 0
.LBB3_52:                               ;   in Loop: Header=BB3_31 Depth=1
	s_cmp_gt_u32 s22, 7
	s_cbranch_scc1 .LBB3_57
; %bb.53:                               ;   in Loop: Header=BB3_31 Depth=1
	v_mov_b32_e32 v19, 0
	v_mov_b32_e32 v20, 0
	s_cmp_eq_u32 s22, 0
	s_cbranch_scc1 .LBB3_56
; %bb.54:                               ;   in Loop: Header=BB3_31 Depth=1
	s_mov_b64 s[18:19], 0
	s_mov_b64 s[20:21], 0
.LBB3_55:                               ;   Parent Loop BB3_31 Depth=1
                                        ; =>  This Inner Loop Header: Depth=2
	s_add_u32 s24, s4, s20
	s_addc_u32 s25, s5, s21
	s_add_u32 s20, s20, 1
	global_load_ubyte v11, v12, s[24:25]
	s_addc_u32 s21, s21, 0
	s_waitcnt vmcnt(0)
	v_and_b32_e32 v11, 0xffff, v11
	v_lshlrev_b64 v[21:22], s18, v[11:12]
	s_add_u32 s18, s18, 8
	s_addc_u32 s19, s19, 0
	s_cmp_lg_u32 s22, s20
	v_or_b32_e32 v19, v21, v19
	v_or_b32_e32 v20, v22, v20
	s_cbranch_scc1 .LBB3_55
.LBB3_56:                               ;   in Loop: Header=BB3_31 Depth=1
	s_mov_b32 s23, 0
	s_cbranch_execz .LBB3_58
	s_branch .LBB3_59
.LBB3_57:                               ;   in Loop: Header=BB3_31 Depth=1
                                        ; implicit-def: $vgpr19_vgpr20
                                        ; implicit-def: $sgpr23
.LBB3_58:                               ;   in Loop: Header=BB3_31 Depth=1
	global_load_dwordx2 v[19:20], v12, s[4:5]
	s_add_i32 s23, s22, -8
	s_add_u32 s4, s4, 8
	s_addc_u32 s5, s5, 0
.LBB3_59:                               ;   in Loop: Header=BB3_31 Depth=1
	s_cmp_gt_u32 s23, 7
	s_cbranch_scc1 .LBB3_64
; %bb.60:                               ;   in Loop: Header=BB3_31 Depth=1
	v_mov_b32_e32 v21, 0
	v_mov_b32_e32 v22, 0
	s_cmp_eq_u32 s23, 0
	s_cbranch_scc1 .LBB3_63
; %bb.61:                               ;   in Loop: Header=BB3_31 Depth=1
	s_mov_b64 s[18:19], 0
	s_mov_b64 s[20:21], 0
.LBB3_62:                               ;   Parent Loop BB3_31 Depth=1
                                        ; =>  This Inner Loop Header: Depth=2
	s_add_u32 s24, s4, s20
	s_addc_u32 s25, s5, s21
	s_add_u32 s20, s20, 1
	global_load_ubyte v11, v12, s[24:25]
	s_addc_u32 s21, s21, 0
	s_waitcnt vmcnt(0)
	v_and_b32_e32 v11, 0xffff, v11
	v_lshlrev_b64 v[23:24], s18, v[11:12]
	s_add_u32 s18, s18, 8
	s_addc_u32 s19, s19, 0
	s_cmp_lg_u32 s23, s20
	v_or_b32_e32 v21, v23, v21
	v_or_b32_e32 v22, v24, v22
	s_cbranch_scc1 .LBB3_62
.LBB3_63:                               ;   in Loop: Header=BB3_31 Depth=1
	s_mov_b32 s22, 0
	s_cbranch_execz .LBB3_65
	s_branch .LBB3_66
.LBB3_64:                               ;   in Loop: Header=BB3_31 Depth=1
                                        ; implicit-def: $sgpr22
.LBB3_65:                               ;   in Loop: Header=BB3_31 Depth=1
	global_load_dwordx2 v[21:22], v12, s[4:5]
	s_add_i32 s22, s23, -8
	s_add_u32 s4, s4, 8
	s_addc_u32 s5, s5, 0
.LBB3_66:                               ;   in Loop: Header=BB3_31 Depth=1
	s_cmp_gt_u32 s22, 7
	s_cbranch_scc1 .LBB3_71
; %bb.67:                               ;   in Loop: Header=BB3_31 Depth=1
	v_mov_b32_e32 v23, 0
	v_mov_b32_e32 v24, 0
	s_cmp_eq_u32 s22, 0
	s_cbranch_scc1 .LBB3_70
; %bb.68:                               ;   in Loop: Header=BB3_31 Depth=1
	s_mov_b64 s[18:19], 0
	s_mov_b64 s[20:21], 0
.LBB3_69:                               ;   Parent Loop BB3_31 Depth=1
                                        ; =>  This Inner Loop Header: Depth=2
	s_add_u32 s24, s4, s20
	s_addc_u32 s25, s5, s21
	s_add_u32 s20, s20, 1
	global_load_ubyte v11, v12, s[24:25]
	s_addc_u32 s21, s21, 0
	s_waitcnt vmcnt(0)
	v_and_b32_e32 v11, 0xffff, v11
	v_lshlrev_b64 v[25:26], s18, v[11:12]
	s_add_u32 s18, s18, 8
	s_addc_u32 s19, s19, 0
	s_cmp_lg_u32 s22, s20
	v_or_b32_e32 v23, v25, v23
	v_or_b32_e32 v24, v26, v24
	s_cbranch_scc1 .LBB3_69
.LBB3_70:                               ;   in Loop: Header=BB3_31 Depth=1
	s_mov_b32 s23, 0
	s_cbranch_execz .LBB3_72
	s_branch .LBB3_73
.LBB3_71:                               ;   in Loop: Header=BB3_31 Depth=1
                                        ; implicit-def: $vgpr23_vgpr24
                                        ; implicit-def: $sgpr23
.LBB3_72:                               ;   in Loop: Header=BB3_31 Depth=1
	global_load_dwordx2 v[23:24], v12, s[4:5]
	s_add_i32 s23, s22, -8
	s_add_u32 s4, s4, 8
	s_addc_u32 s5, s5, 0
.LBB3_73:                               ;   in Loop: Header=BB3_31 Depth=1
	s_cmp_gt_u32 s23, 7
	s_cbranch_scc1 .LBB3_78
; %bb.74:                               ;   in Loop: Header=BB3_31 Depth=1
	v_mov_b32_e32 v25, 0
	v_mov_b32_e32 v26, 0
	s_cmp_eq_u32 s23, 0
	s_cbranch_scc1 .LBB3_77
; %bb.75:                               ;   in Loop: Header=BB3_31 Depth=1
	s_mov_b64 s[18:19], 0
	s_mov_b64 s[20:21], s[4:5]
.LBB3_76:                               ;   Parent Loop BB3_31 Depth=1
                                        ; =>  This Inner Loop Header: Depth=2
	global_load_ubyte v11, v12, s[20:21]
	s_add_i32 s23, s23, -1
	s_waitcnt vmcnt(0)
	v_and_b32_e32 v11, 0xffff, v11
	v_lshlrev_b64 v[27:28], s18, v[11:12]
	s_add_u32 s18, s18, 8
	s_addc_u32 s19, s19, 0
	s_add_u32 s20, s20, 1
	s_addc_u32 s21, s21, 0
	s_cmp_lg_u32 s23, 0
	v_or_b32_e32 v25, v27, v25
	v_or_b32_e32 v26, v28, v26
	s_cbranch_scc1 .LBB3_76
.LBB3_77:                               ;   in Loop: Header=BB3_31 Depth=1
	s_cbranch_execz .LBB3_79
	s_branch .LBB3_80
.LBB3_78:                               ;   in Loop: Header=BB3_31 Depth=1
.LBB3_79:                               ;   in Loop: Header=BB3_31 Depth=1
	global_load_dwordx2 v[25:26], v12, s[4:5]
.LBB3_80:                               ;   in Loop: Header=BB3_31 Depth=1
	v_readfirstlane_b32 s4, v51
	v_mov_b32_e32 v31, 0
	v_mov_b32_e32 v32, 0
	v_cmp_eq_u32_e64 s4, s4, v51
	s_and_saveexec_b32 s5, s4
	s_cbranch_execz .LBB3_86
; %bb.81:                               ;   in Loop: Header=BB3_31 Depth=1
	global_load_dwordx2 v[29:30], v12, s[38:39] offset:24 glc dlc
	s_waitcnt vmcnt(0)
	buffer_gl1_inv
	buffer_gl0_inv
	s_clause 0x1
	global_load_dwordx2 v[27:28], v12, s[38:39] offset:40
	global_load_dwordx2 v[31:32], v12, s[38:39]
	s_mov_b32 s18, exec_lo
	s_waitcnt vmcnt(1)
	v_and_b32_e32 v11, v28, v30
	v_and_b32_e32 v27, v27, v29
	v_mul_lo_u32 v11, v11, 24
	v_mul_hi_u32 v28, v27, 24
	v_mul_lo_u32 v27, v27, 24
	v_add_nc_u32_e32 v11, v28, v11
	s_waitcnt vmcnt(0)
	v_add_co_u32 v27, vcc_lo, v31, v27
	v_add_co_ci_u32_e32 v28, vcc_lo, v32, v11, vcc_lo
	global_load_dwordx2 v[27:28], v[27:28], off glc dlc
	s_waitcnt vmcnt(0)
	global_atomic_cmpswap_x2 v[31:32], v12, v[27:30], s[38:39] offset:24 glc
	s_waitcnt vmcnt(0)
	buffer_gl1_inv
	buffer_gl0_inv
	v_cmpx_ne_u64_e64 v[31:32], v[29:30]
	s_cbranch_execz .LBB3_85
; %bb.82:                               ;   in Loop: Header=BB3_31 Depth=1
	s_mov_b32 s19, 0
	.p2align	6
.LBB3_83:                               ;   Parent Loop BB3_31 Depth=1
                                        ; =>  This Inner Loop Header: Depth=2
	s_sleep 1
	s_clause 0x1
	global_load_dwordx2 v[27:28], v12, s[38:39] offset:40
	global_load_dwordx2 v[34:35], v12, s[38:39]
	v_mov_b32_e32 v29, v31
	v_mov_b32_e32 v30, v32
	s_waitcnt vmcnt(1)
	v_and_b32_e32 v11, v27, v29
	v_and_b32_e32 v27, v28, v30
	s_waitcnt vmcnt(0)
	v_mad_u64_u32 v[31:32], null, v11, 24, v[34:35]
	v_mov_b32_e32 v11, v32
	v_mad_u64_u32 v[27:28], null, v27, 24, v[11:12]
	v_mov_b32_e32 v32, v27
	global_load_dwordx2 v[27:28], v[31:32], off glc dlc
	s_waitcnt vmcnt(0)
	global_atomic_cmpswap_x2 v[31:32], v12, v[27:30], s[38:39] offset:24 glc
	s_waitcnt vmcnt(0)
	buffer_gl1_inv
	buffer_gl0_inv
	v_cmp_eq_u64_e32 vcc_lo, v[31:32], v[29:30]
	s_or_b32 s19, vcc_lo, s19
	s_andn2_b32 exec_lo, exec_lo, s19
	s_cbranch_execnz .LBB3_83
; %bb.84:                               ;   in Loop: Header=BB3_31 Depth=1
	s_or_b32 exec_lo, exec_lo, s19
.LBB3_85:                               ;   in Loop: Header=BB3_31 Depth=1
	s_or_b32 exec_lo, exec_lo, s18
.LBB3_86:                               ;   in Loop: Header=BB3_31 Depth=1
	s_or_b32 exec_lo, exec_lo, s5
	s_clause 0x1
	global_load_dwordx2 v[34:35], v12, s[38:39] offset:40
	global_load_dwordx4 v[27:30], v12, s[38:39]
	v_readfirstlane_b32 s18, v31
	v_readfirstlane_b32 s19, v32
	s_mov_b32 s5, exec_lo
	s_waitcnt vmcnt(1)
	v_readfirstlane_b32 s20, v34
	v_readfirstlane_b32 s21, v35
	s_and_b64 s[20:21], s[18:19], s[20:21]
	s_mul_i32 s22, s21, 24
	s_mul_hi_u32 s23, s20, 24
	s_mul_i32 s24, s20, 24
	s_add_i32 s23, s23, s22
	s_waitcnt vmcnt(0)
	v_add_co_u32 v31, vcc_lo, v27, s24
	v_add_co_ci_u32_e32 v32, vcc_lo, s23, v28, vcc_lo
	s_and_saveexec_b32 s22, s4
	s_cbranch_execz .LBB3_88
; %bb.87:                               ;   in Loop: Header=BB3_31 Depth=1
	v_mov_b32_e32 v11, s5
	global_store_dwordx4 v[31:32], v[11:14], off offset:8
.LBB3_88:                               ;   in Loop: Header=BB3_31 Depth=1
	s_or_b32 exec_lo, exec_lo, s22
	s_lshl_b64 s[20:21], s[20:21], 12
	v_cmp_gt_u64_e64 vcc_lo, s[10:11], 56
	v_or_b32_e32 v34, v0, v33
	v_add_co_u32 v29, s5, v29, s20
	v_add_co_ci_u32_e64 v30, s5, s21, v30, s5
	s_lshl_b32 s5, s16, 2
	v_or_b32_e32 v11, 0, v1
	v_cndmask_b32_e32 v0, v34, v0, vcc_lo
	s_add_i32 s5, s5, 28
	v_readfirstlane_b32 s20, v29
	s_and_b32 s5, s5, 0x1e0
	v_cndmask_b32_e32 v1, v11, v1, vcc_lo
	v_readfirstlane_b32 s21, v30
	v_and_or_b32 v0, 0xffffff1f, v0, s5
	global_store_dwordx4 v50, v[0:3], s[20:21]
	global_store_dwordx4 v50, v[15:18], s[20:21] offset:16
	global_store_dwordx4 v50, v[19:22], s[20:21] offset:32
	;; [unrolled: 1-line block ×3, first 2 shown]
	s_and_saveexec_b32 s5, s4
	s_cbranch_execz .LBB3_96
; %bb.89:                               ;   in Loop: Header=BB3_31 Depth=1
	s_clause 0x1
	global_load_dwordx2 v[19:20], v12, s[38:39] offset:32 glc dlc
	global_load_dwordx2 v[0:1], v12, s[38:39] offset:40
	v_mov_b32_e32 v17, s18
	v_mov_b32_e32 v18, s19
	s_waitcnt vmcnt(0)
	v_readfirstlane_b32 s20, v0
	v_readfirstlane_b32 s21, v1
	s_and_b64 s[20:21], s[20:21], s[18:19]
	s_mul_i32 s21, s21, 24
	s_mul_hi_u32 s22, s20, 24
	s_mul_i32 s20, s20, 24
	s_add_i32 s22, s22, s21
	v_add_co_u32 v15, vcc_lo, v27, s20
	v_add_co_ci_u32_e32 v16, vcc_lo, s22, v28, vcc_lo
	s_mov_b32 s20, exec_lo
	global_store_dwordx2 v[15:16], v[19:20], off
	s_waitcnt_vscnt null, 0x0
	global_atomic_cmpswap_x2 v[2:3], v12, v[17:20], s[38:39] offset:32 glc
	s_waitcnt vmcnt(0)
	v_cmpx_ne_u64_e64 v[2:3], v[19:20]
	s_cbranch_execz .LBB3_92
; %bb.90:                               ;   in Loop: Header=BB3_31 Depth=1
	s_mov_b32 s21, 0
.LBB3_91:                               ;   Parent Loop BB3_31 Depth=1
                                        ; =>  This Inner Loop Header: Depth=2
	v_mov_b32_e32 v0, s18
	v_mov_b32_e32 v1, s19
	s_sleep 1
	global_store_dwordx2 v[15:16], v[2:3], off
	s_waitcnt_vscnt null, 0x0
	global_atomic_cmpswap_x2 v[0:1], v12, v[0:3], s[38:39] offset:32 glc
	s_waitcnt vmcnt(0)
	v_cmp_eq_u64_e32 vcc_lo, v[0:1], v[2:3]
	v_mov_b32_e32 v3, v1
	v_mov_b32_e32 v2, v0
	s_or_b32 s21, vcc_lo, s21
	s_andn2_b32 exec_lo, exec_lo, s21
	s_cbranch_execnz .LBB3_91
.LBB3_92:                               ;   in Loop: Header=BB3_31 Depth=1
	s_or_b32 exec_lo, exec_lo, s20
	global_load_dwordx2 v[0:1], v12, s[38:39] offset:16
	s_mov_b32 s21, exec_lo
	s_mov_b32 s20, exec_lo
	v_mbcnt_lo_u32_b32 v2, s21, 0
	v_cmpx_eq_u32_e32 0, v2
	s_cbranch_execz .LBB3_94
; %bb.93:                               ;   in Loop: Header=BB3_31 Depth=1
	s_bcnt1_i32_b32 s21, s21
	v_mov_b32_e32 v11, s21
	s_waitcnt vmcnt(0)
	global_atomic_add_x2 v[0:1], v[11:12], off offset:8
.LBB3_94:                               ;   in Loop: Header=BB3_31 Depth=1
	s_or_b32 exec_lo, exec_lo, s20
	s_waitcnt vmcnt(0)
	global_load_dwordx2 v[2:3], v[0:1], off offset:16
	s_waitcnt vmcnt(0)
	v_cmp_eq_u64_e32 vcc_lo, 0, v[2:3]
	s_cbranch_vccnz .LBB3_96
; %bb.95:                               ;   in Loop: Header=BB3_31 Depth=1
	global_load_dword v11, v[0:1], off offset:24
	s_waitcnt vmcnt(0)
	v_and_b32_e32 v0, 0x7fffff, v11
	s_waitcnt_vscnt null, 0x0
	global_store_dwordx2 v[2:3], v[11:12], off
	v_readfirstlane_b32 m0, v0
	s_sendmsg sendmsg(MSG_INTERRUPT)
.LBB3_96:                               ;   in Loop: Header=BB3_31 Depth=1
	s_or_b32 exec_lo, exec_lo, s5
	v_add_co_u32 v0, vcc_lo, v29, v50
	v_add_co_ci_u32_e32 v1, vcc_lo, 0, v30, vcc_lo
	s_branch .LBB3_100
	.p2align	6
.LBB3_97:                               ;   in Loop: Header=BB3_100 Depth=2
	s_or_b32 exec_lo, exec_lo, s5
	v_readfirstlane_b32 s5, v2
	s_cmp_eq_u32 s5, 0
	s_cbranch_scc1 .LBB3_99
; %bb.98:                               ;   in Loop: Header=BB3_100 Depth=2
	s_sleep 1
	s_cbranch_execnz .LBB3_100
	s_branch .LBB3_102
	.p2align	6
.LBB3_99:                               ;   in Loop: Header=BB3_31 Depth=1
	s_branch .LBB3_102
.LBB3_100:                              ;   Parent Loop BB3_31 Depth=1
                                        ; =>  This Inner Loop Header: Depth=2
	v_mov_b32_e32 v2, 1
	s_and_saveexec_b32 s5, s4
	s_cbranch_execz .LBB3_97
; %bb.101:                              ;   in Loop: Header=BB3_100 Depth=2
	global_load_dword v2, v[31:32], off offset:20 glc dlc
	s_waitcnt vmcnt(0)
	buffer_gl1_inv
	buffer_gl0_inv
	v_and_b32_e32 v2, 1, v2
	s_branch .LBB3_97
.LBB3_102:                              ;   in Loop: Header=BB3_31 Depth=1
	global_load_dwordx4 v[0:3], v[0:1], off
	s_and_saveexec_b32 s5, s4
	s_cbranch_execz .LBB3_30
; %bb.103:                              ;   in Loop: Header=BB3_31 Depth=1
	s_clause 0x2
	global_load_dwordx2 v[2:3], v12, s[38:39] offset:40
	global_load_dwordx2 v[19:20], v12, s[38:39] offset:24 glc dlc
	global_load_dwordx2 v[17:18], v12, s[38:39]
	s_waitcnt vmcnt(2)
	v_add_co_u32 v11, vcc_lo, v2, 1
	v_add_co_ci_u32_e32 v21, vcc_lo, 0, v3, vcc_lo
	v_add_co_u32 v15, vcc_lo, v11, s18
	v_add_co_ci_u32_e32 v16, vcc_lo, s19, v21, vcc_lo
	v_cmp_eq_u64_e32 vcc_lo, 0, v[15:16]
	v_cndmask_b32_e32 v16, v16, v21, vcc_lo
	v_cndmask_b32_e32 v15, v15, v11, vcc_lo
	v_and_b32_e32 v3, v16, v3
	v_and_b32_e32 v2, v15, v2
	v_mul_lo_u32 v3, v3, 24
	v_mul_hi_u32 v11, v2, 24
	v_mul_lo_u32 v2, v2, 24
	v_add_nc_u32_e32 v3, v11, v3
	s_waitcnt vmcnt(0)
	v_add_co_u32 v2, vcc_lo, v17, v2
	v_mov_b32_e32 v17, v19
	v_add_co_ci_u32_e32 v3, vcc_lo, v18, v3, vcc_lo
	v_mov_b32_e32 v18, v20
	global_store_dwordx2 v[2:3], v[19:20], off
	s_waitcnt_vscnt null, 0x0
	global_atomic_cmpswap_x2 v[17:18], v12, v[15:18], s[38:39] offset:24 glc
	s_waitcnt vmcnt(0)
	v_cmp_ne_u64_e32 vcc_lo, v[17:18], v[19:20]
	s_and_b32 exec_lo, exec_lo, vcc_lo
	s_cbranch_execz .LBB3_30
; %bb.104:                              ;   in Loop: Header=BB3_31 Depth=1
	s_mov_b32 s4, 0
.LBB3_105:                              ;   Parent Loop BB3_31 Depth=1
                                        ; =>  This Inner Loop Header: Depth=2
	s_sleep 1
	global_store_dwordx2 v[2:3], v[17:18], off
	s_waitcnt_vscnt null, 0x0
	global_atomic_cmpswap_x2 v[19:20], v12, v[15:18], s[38:39] offset:24 glc
	s_waitcnt vmcnt(0)
	v_cmp_eq_u64_e32 vcc_lo, v[19:20], v[17:18]
	v_mov_b32_e32 v17, v19
	v_mov_b32_e32 v18, v20
	s_or_b32 s4, vcc_lo, s4
	s_andn2_b32 exec_lo, exec_lo, s4
	s_cbranch_execnz .LBB3_105
	s_branch .LBB3_30
.LBB3_106:
	s_branch .LBB3_135
.LBB3_107:
                                        ; implicit-def: $vgpr0_vgpr1
	s_cbranch_execz .LBB3_135
; %bb.108:
	v_readfirstlane_b32 s4, v51
	v_mov_b32_e32 v12, 0
	v_mov_b32_e32 v13, 0
	v_cmp_eq_u32_e64 s4, s4, v51
	s_and_saveexec_b32 s5, s4
	s_cbranch_execz .LBB3_114
; %bb.109:
	s_waitcnt vmcnt(0)
	v_mov_b32_e32 v0, 0
	s_mov_b32 s6, exec_lo
	global_load_dwordx2 v[14:15], v0, s[38:39] offset:24 glc dlc
	s_waitcnt vmcnt(0)
	buffer_gl1_inv
	buffer_gl0_inv
	s_clause 0x1
	global_load_dwordx2 v[1:2], v0, s[38:39] offset:40
	global_load_dwordx2 v[11:12], v0, s[38:39]
	s_waitcnt vmcnt(1)
	v_and_b32_e32 v2, v2, v15
	v_and_b32_e32 v1, v1, v14
	v_mul_lo_u32 v2, v2, 24
	v_mul_hi_u32 v3, v1, 24
	v_mul_lo_u32 v1, v1, 24
	v_add_nc_u32_e32 v2, v3, v2
	s_waitcnt vmcnt(0)
	v_add_co_u32 v1, vcc_lo, v11, v1
	v_add_co_ci_u32_e32 v2, vcc_lo, v12, v2, vcc_lo
	global_load_dwordx2 v[12:13], v[1:2], off glc dlc
	s_waitcnt vmcnt(0)
	global_atomic_cmpswap_x2 v[12:13], v0, v[12:15], s[38:39] offset:24 glc
	s_waitcnt vmcnt(0)
	buffer_gl1_inv
	buffer_gl0_inv
	v_cmpx_ne_u64_e64 v[12:13], v[14:15]
	s_cbranch_execz .LBB3_113
; %bb.110:
	s_mov_b32 s7, 0
	.p2align	6
.LBB3_111:                              ; =>This Inner Loop Header: Depth=1
	s_sleep 1
	s_clause 0x1
	global_load_dwordx2 v[1:2], v0, s[38:39] offset:40
	global_load_dwordx2 v[16:17], v0, s[38:39]
	v_mov_b32_e32 v15, v13
	v_mov_b32_e32 v14, v12
	s_waitcnt vmcnt(1)
	v_and_b32_e32 v1, v1, v14
	v_and_b32_e32 v2, v2, v15
	s_waitcnt vmcnt(0)
	v_mad_u64_u32 v[11:12], null, v1, 24, v[16:17]
	v_mov_b32_e32 v1, v12
	v_mad_u64_u32 v[1:2], null, v2, 24, v[1:2]
	v_mov_b32_e32 v12, v1
	global_load_dwordx2 v[12:13], v[11:12], off glc dlc
	s_waitcnt vmcnt(0)
	global_atomic_cmpswap_x2 v[12:13], v0, v[12:15], s[38:39] offset:24 glc
	s_waitcnt vmcnt(0)
	buffer_gl1_inv
	buffer_gl0_inv
	v_cmp_eq_u64_e32 vcc_lo, v[12:13], v[14:15]
	s_or_b32 s7, vcc_lo, s7
	s_andn2_b32 exec_lo, exec_lo, s7
	s_cbranch_execnz .LBB3_111
; %bb.112:
	s_or_b32 exec_lo, exec_lo, s7
.LBB3_113:
	s_or_b32 exec_lo, exec_lo, s6
.LBB3_114:
	s_or_b32 exec_lo, exec_lo, s5
	v_mov_b32_e32 v11, 0
	v_readfirstlane_b32 s6, v12
	v_readfirstlane_b32 s7, v13
	s_mov_b32 s5, exec_lo
	s_clause 0x1
	global_load_dwordx2 v[14:15], v11, s[38:39] offset:40
	global_load_dwordx4 v[0:3], v11, s[38:39]
	s_waitcnt vmcnt(1)
	v_readfirstlane_b32 s10, v14
	v_readfirstlane_b32 s11, v15
	s_and_b64 s[10:11], s[6:7], s[10:11]
	s_mul_i32 s16, s11, 24
	s_mul_hi_u32 s17, s10, 24
	s_mul_i32 s18, s10, 24
	s_add_i32 s17, s17, s16
	s_waitcnt vmcnt(0)
	v_add_co_u32 v13, vcc_lo, v0, s18
	v_add_co_ci_u32_e32 v14, vcc_lo, s17, v1, vcc_lo
	s_and_saveexec_b32 s16, s4
	s_cbranch_execz .LBB3_116
; %bb.115:
	v_mov_b32_e32 v15, s5
	v_mov_b32_e32 v16, v11
	;; [unrolled: 1-line block ×4, first 2 shown]
	global_store_dwordx4 v[13:14], v[15:18], off offset:8
.LBB3_116:
	s_or_b32 exec_lo, exec_lo, s16
	s_lshl_b64 s[10:11], s[10:11], 12
	s_mov_b32 s16, 0
	v_add_co_u32 v2, vcc_lo, v2, s10
	v_add_co_ci_u32_e32 v3, vcc_lo, s11, v3, vcc_lo
	s_mov_b32 s19, s16
	v_add_co_u32 v15, vcc_lo, v2, v50
	s_mov_b32 s17, s16
	s_mov_b32 s18, s16
	v_and_or_b32 v9, 0xffffff1f, v9, 32
	v_mov_b32_e32 v12, v11
	v_readfirstlane_b32 s10, v2
	v_readfirstlane_b32 s11, v3
	v_mov_b32_e32 v20, s19
	v_add_co_ci_u32_e32 v16, vcc_lo, 0, v3, vcc_lo
	v_mov_b32_e32 v19, s18
	v_mov_b32_e32 v18, s17
	v_mov_b32_e32 v17, s16
	global_store_dwordx4 v50, v[9:12], s[10:11]
	global_store_dwordx4 v50, v[17:20], s[10:11] offset:16
	global_store_dwordx4 v50, v[17:20], s[10:11] offset:32
	global_store_dwordx4 v50, v[17:20], s[10:11] offset:48
	s_and_saveexec_b32 s5, s4
	s_cbranch_execz .LBB3_124
; %bb.117:
	v_mov_b32_e32 v11, 0
	v_mov_b32_e32 v17, s6
	;; [unrolled: 1-line block ×3, first 2 shown]
	s_clause 0x1
	global_load_dwordx2 v[19:20], v11, s[38:39] offset:32 glc dlc
	global_load_dwordx2 v[2:3], v11, s[38:39] offset:40
	s_waitcnt vmcnt(0)
	v_readfirstlane_b32 s10, v2
	v_readfirstlane_b32 s11, v3
	s_and_b64 s[10:11], s[10:11], s[6:7]
	s_mul_i32 s11, s11, 24
	s_mul_hi_u32 s16, s10, 24
	s_mul_i32 s10, s10, 24
	s_add_i32 s16, s16, s11
	v_add_co_u32 v9, vcc_lo, v0, s10
	v_add_co_ci_u32_e32 v10, vcc_lo, s16, v1, vcc_lo
	s_mov_b32 s10, exec_lo
	global_store_dwordx2 v[9:10], v[19:20], off
	s_waitcnt_vscnt null, 0x0
	global_atomic_cmpswap_x2 v[2:3], v11, v[17:20], s[38:39] offset:32 glc
	s_waitcnt vmcnt(0)
	v_cmpx_ne_u64_e64 v[2:3], v[19:20]
	s_cbranch_execz .LBB3_120
; %bb.118:
	s_mov_b32 s11, 0
.LBB3_119:                              ; =>This Inner Loop Header: Depth=1
	v_mov_b32_e32 v0, s6
	v_mov_b32_e32 v1, s7
	s_sleep 1
	global_store_dwordx2 v[9:10], v[2:3], off
	s_waitcnt_vscnt null, 0x0
	global_atomic_cmpswap_x2 v[0:1], v11, v[0:3], s[38:39] offset:32 glc
	s_waitcnt vmcnt(0)
	v_cmp_eq_u64_e32 vcc_lo, v[0:1], v[2:3]
	v_mov_b32_e32 v3, v1
	v_mov_b32_e32 v2, v0
	s_or_b32 s11, vcc_lo, s11
	s_andn2_b32 exec_lo, exec_lo, s11
	s_cbranch_execnz .LBB3_119
.LBB3_120:
	s_or_b32 exec_lo, exec_lo, s10
	v_mov_b32_e32 v3, 0
	s_mov_b32 s11, exec_lo
	s_mov_b32 s10, exec_lo
	v_mbcnt_lo_u32_b32 v2, s11, 0
	global_load_dwordx2 v[0:1], v3, s[38:39] offset:16
	v_cmpx_eq_u32_e32 0, v2
	s_cbranch_execz .LBB3_122
; %bb.121:
	s_bcnt1_i32_b32 s11, s11
	v_mov_b32_e32 v2, s11
	s_waitcnt vmcnt(0)
	global_atomic_add_x2 v[0:1], v[2:3], off offset:8
.LBB3_122:
	s_or_b32 exec_lo, exec_lo, s10
	s_waitcnt vmcnt(0)
	global_load_dwordx2 v[2:3], v[0:1], off offset:16
	s_waitcnt vmcnt(0)
	v_cmp_eq_u64_e32 vcc_lo, 0, v[2:3]
	s_cbranch_vccnz .LBB3_124
; %bb.123:
	global_load_dword v0, v[0:1], off offset:24
	v_mov_b32_e32 v1, 0
	s_waitcnt vmcnt(0)
	v_and_b32_e32 v9, 0x7fffff, v0
	s_waitcnt_vscnt null, 0x0
	global_store_dwordx2 v[2:3], v[0:1], off
	v_readfirstlane_b32 m0, v9
	s_sendmsg sendmsg(MSG_INTERRUPT)
.LBB3_124:
	s_or_b32 exec_lo, exec_lo, s5
	s_branch .LBB3_128
	.p2align	6
.LBB3_125:                              ;   in Loop: Header=BB3_128 Depth=1
	s_or_b32 exec_lo, exec_lo, s5
	v_readfirstlane_b32 s5, v0
	s_cmp_eq_u32 s5, 0
	s_cbranch_scc1 .LBB3_127
; %bb.126:                              ;   in Loop: Header=BB3_128 Depth=1
	s_sleep 1
	s_cbranch_execnz .LBB3_128
	s_branch .LBB3_130
	.p2align	6
.LBB3_127:
	s_branch .LBB3_130
.LBB3_128:                              ; =>This Inner Loop Header: Depth=1
	v_mov_b32_e32 v0, 1
	s_and_saveexec_b32 s5, s4
	s_cbranch_execz .LBB3_125
; %bb.129:                              ;   in Loop: Header=BB3_128 Depth=1
	global_load_dword v0, v[13:14], off offset:20 glc dlc
	s_waitcnt vmcnt(0)
	buffer_gl1_inv
	buffer_gl0_inv
	v_and_b32_e32 v0, 1, v0
	s_branch .LBB3_125
.LBB3_130:
	global_load_dwordx2 v[0:1], v[15:16], off
	s_and_saveexec_b32 s5, s4
	s_cbranch_execz .LBB3_134
; %bb.131:
	v_mov_b32_e32 v13, 0
	s_clause 0x2
	global_load_dwordx2 v[2:3], v13, s[38:39] offset:40
	global_load_dwordx2 v[14:15], v13, s[38:39] offset:24 glc dlc
	global_load_dwordx2 v[11:12], v13, s[38:39]
	s_waitcnt vmcnt(2)
	v_add_co_u32 v16, vcc_lo, v2, 1
	v_add_co_ci_u32_e32 v17, vcc_lo, 0, v3, vcc_lo
	v_add_co_u32 v9, vcc_lo, v16, s6
	v_add_co_ci_u32_e32 v10, vcc_lo, s7, v17, vcc_lo
	v_cmp_eq_u64_e32 vcc_lo, 0, v[9:10]
	v_cndmask_b32_e32 v10, v10, v17, vcc_lo
	v_cndmask_b32_e32 v9, v9, v16, vcc_lo
	v_and_b32_e32 v3, v10, v3
	v_and_b32_e32 v2, v9, v2
	v_mul_lo_u32 v3, v3, 24
	v_mul_hi_u32 v16, v2, 24
	v_mul_lo_u32 v2, v2, 24
	v_add_nc_u32_e32 v3, v16, v3
	s_waitcnt vmcnt(0)
	v_add_co_u32 v2, vcc_lo, v11, v2
	v_mov_b32_e32 v11, v14
	v_add_co_ci_u32_e32 v3, vcc_lo, v12, v3, vcc_lo
	v_mov_b32_e32 v12, v15
	global_store_dwordx2 v[2:3], v[14:15], off
	s_waitcnt_vscnt null, 0x0
	global_atomic_cmpswap_x2 v[11:12], v13, v[9:12], s[38:39] offset:24 glc
	s_waitcnt vmcnt(0)
	v_cmp_ne_u64_e32 vcc_lo, v[11:12], v[14:15]
	s_and_b32 exec_lo, exec_lo, vcc_lo
	s_cbranch_execz .LBB3_134
; %bb.132:
	s_mov_b32 s4, 0
.LBB3_133:                              ; =>This Inner Loop Header: Depth=1
	s_sleep 1
	global_store_dwordx2 v[2:3], v[11:12], off
	s_waitcnt_vscnt null, 0x0
	global_atomic_cmpswap_x2 v[14:15], v13, v[9:12], s[38:39] offset:24 glc
	s_waitcnt vmcnt(0)
	v_cmp_eq_u64_e32 vcc_lo, v[14:15], v[11:12]
	v_mov_b32_e32 v11, v14
	v_mov_b32_e32 v12, v15
	s_or_b32 s4, vcc_lo, s4
	s_andn2_b32 exec_lo, exec_lo, s4
	s_cbranch_execnz .LBB3_133
.LBB3_134:
	s_or_b32 exec_lo, exec_lo, s5
.LBB3_135:
	v_cmp_ne_u64_e32 vcc_lo, 0, v[6:7]
	v_mov_b32_e32 v29, 0
	v_mov_b32_e32 v30, 0
	s_and_saveexec_b32 s5, vcc_lo
	s_cbranch_execnz .LBB3_138
; %bb.136:
	s_or_b32 exec_lo, exec_lo, s5
	s_and_saveexec_b32 s4, vcc_lo
	s_xor_b32 s16, exec_lo, s4
	s_cbranch_execnz .LBB3_141
.LBB3_137:
	s_andn2_saveexec_b32 s5, s16
	s_cbranch_execnz .LBB3_226
	s_branch .LBB3_253
.LBB3_138:
	s_waitcnt vmcnt(0)
	v_add_co_u32 v2, s4, v6, -1
	v_add_co_ci_u32_e64 v3, s4, -1, v7, s4
	s_mov_b32 s6, 0
.LBB3_139:                              ; =>This Inner Loop Header: Depth=1
	flat_load_ubyte v11, v[2:3] offset:1
	v_add_co_u32 v9, s4, v2, 1
	v_add_co_ci_u32_e64 v10, s4, 0, v3, s4
	v_mov_b32_e32 v2, v9
	v_mov_b32_e32 v3, v10
	s_waitcnt vmcnt(0) lgkmcnt(0)
	v_cmp_eq_u16_e64 s4, 0, v11
	s_or_b32 s6, s4, s6
	s_andn2_b32 exec_lo, exec_lo, s6
	s_cbranch_execnz .LBB3_139
; %bb.140:
	s_or_b32 exec_lo, exec_lo, s6
	v_sub_co_u32 v2, s4, v9, v6
	v_sub_co_ci_u32_e64 v3, s4, v10, v7, s4
	v_add_co_u32 v29, s4, v2, 1
	v_add_co_ci_u32_e64 v30, s4, 0, v3, s4
	s_or_b32 exec_lo, exec_lo, s5
	s_and_saveexec_b32 s4, vcc_lo
	s_xor_b32 s16, exec_lo, s4
	s_cbranch_execz .LBB3_137
.LBB3_141:
	s_waitcnt vmcnt(0)
	v_and_b32_e32 v0, -3, v0
	v_mov_b32_e32 v10, 0
	v_mov_b32_e32 v11, 2
	;; [unrolled: 1-line block ×3, first 2 shown]
	s_mov_b32 s18, 0
	s_mov_b32 s17, 0
	s_branch .LBB3_143
.LBB3_142:                              ;   in Loop: Header=BB3_143 Depth=1
	s_or_b32 exec_lo, exec_lo, s5
	v_sub_co_u32 v29, vcc_lo, v29, v31
	v_sub_co_ci_u32_e32 v30, vcc_lo, v30, v32, vcc_lo
	v_add_co_u32 v6, s4, v6, v31
	v_add_co_ci_u32_e64 v7, s4, v7, v32, s4
	v_cmp_eq_u64_e32 vcc_lo, 0, v[29:30]
	s_or_b32 s17, vcc_lo, s17
	s_andn2_b32 exec_lo, exec_lo, s17
	s_cbranch_execz .LBB3_225
.LBB3_143:                              ; =>This Loop Header: Depth=1
                                        ;     Child Loop BB3_146 Depth 2
                                        ;     Child Loop BB3_154 Depth 2
                                        ;     Child Loop BB3_162 Depth 2
                                        ;     Child Loop BB3_170 Depth 2
                                        ;     Child Loop BB3_178 Depth 2
                                        ;     Child Loop BB3_186 Depth 2
                                        ;     Child Loop BB3_194 Depth 2
                                        ;     Child Loop BB3_202 Depth 2
                                        ;     Child Loop BB3_210 Depth 2
                                        ;     Child Loop BB3_219 Depth 2
                                        ;     Child Loop BB3_224 Depth 2
	v_cmp_gt_u64_e32 vcc_lo, 56, v[29:30]
	s_mov_b32 s5, exec_lo
                                        ; implicit-def: $sgpr6
	v_cndmask_b32_e32 v32, 0, v30, vcc_lo
	v_cndmask_b32_e32 v31, 56, v29, vcc_lo
	v_cmpx_gt_u64_e32 8, v[29:30]
	s_xor_b32 s5, exec_lo, s5
	s_cbranch_execz .LBB3_149
; %bb.144:                              ;   in Loop: Header=BB3_143 Depth=1
	s_waitcnt vmcnt(0)
	v_mov_b32_e32 v2, 0
	v_mov_b32_e32 v3, 0
	s_mov_b64 s[6:7], 0
	s_mov_b32 s10, exec_lo
	v_cmpx_ne_u64_e32 0, v[29:30]
	s_cbranch_execz .LBB3_148
; %bb.145:                              ;   in Loop: Header=BB3_143 Depth=1
	v_lshlrev_b64 v[13:14], 3, v[31:32]
	v_mov_b32_e32 v2, 0
	v_mov_b32_e32 v15, v7
	;; [unrolled: 1-line block ×4, first 2 shown]
	s_mov_b32 s11, 0
	.p2align	6
.LBB3_146:                              ;   Parent Loop BB3_143 Depth=1
                                        ; =>  This Inner Loop Header: Depth=2
	flat_load_ubyte v9, v[14:15]
	v_mov_b32_e32 v17, s18
	v_add_co_u32 v14, vcc_lo, v14, 1
	v_add_co_ci_u32_e32 v15, vcc_lo, 0, v15, vcc_lo
	s_waitcnt vmcnt(0) lgkmcnt(0)
	v_and_b32_e32 v16, 0xffff, v9
	v_lshlrev_b64 v[16:17], s6, v[16:17]
	s_add_u32 s6, s6, 8
	s_addc_u32 s7, s7, 0
	v_cmp_eq_u32_e64 s4, s6, v13
	v_or_b32_e32 v3, v17, v3
	v_or_b32_e32 v2, v16, v2
	s_or_b32 s11, s4, s11
	s_andn2_b32 exec_lo, exec_lo, s11
	s_cbranch_execnz .LBB3_146
; %bb.147:                              ;   in Loop: Header=BB3_143 Depth=1
	s_or_b32 exec_lo, exec_lo, s11
.LBB3_148:                              ;   in Loop: Header=BB3_143 Depth=1
	s_or_b32 exec_lo, exec_lo, s10
	s_mov_b32 s6, 0
.LBB3_149:                              ;   in Loop: Header=BB3_143 Depth=1
	s_or_saveexec_b32 s4, s5
	v_mov_b32_e32 v26, v7
	v_mov_b32_e32 v9, s6
	;; [unrolled: 1-line block ×3, first 2 shown]
	s_xor_b32 exec_lo, exec_lo, s4
	s_cbranch_execz .LBB3_151
; %bb.150:                              ;   in Loop: Header=BB3_143 Depth=1
	s_waitcnt vmcnt(0)
	flat_load_dwordx2 v[2:3], v[6:7]
	v_add_co_u32 v25, vcc_lo, v6, 8
	v_add_co_ci_u32_e32 v26, vcc_lo, 0, v7, vcc_lo
	s_waitcnt vmcnt(0) lgkmcnt(0)
	v_and_b32_e32 v9, 0xff, v3
	v_and_b32_e32 v13, 0xff00, v3
	;; [unrolled: 1-line block ×4, first 2 shown]
	v_or3_b32 v2, v2, 0, 0
	v_or_b32_e32 v13, v9, v13
	v_add_nc_u32_e32 v9, -8, v31
	v_or3_b32 v3, v13, v14, v3
.LBB3_151:                              ;   in Loop: Header=BB3_143 Depth=1
	s_or_b32 exec_lo, exec_lo, s4
                                        ; implicit-def: $vgpr13_vgpr14
                                        ; implicit-def: $sgpr5
	s_mov_b32 s4, exec_lo
	v_cmpx_gt_u32_e32 8, v9
	s_xor_b32 s10, exec_lo, s4
	s_cbranch_execz .LBB3_157
; %bb.152:                              ;   in Loop: Header=BB3_143 Depth=1
	v_mov_b32_e32 v13, 0
	v_mov_b32_e32 v14, 0
	s_mov_b32 s11, exec_lo
	v_cmpx_ne_u32_e32 0, v9
	s_cbranch_execz .LBB3_156
; %bb.153:                              ;   in Loop: Header=BB3_143 Depth=1
	v_mov_b32_e32 v13, 0
	v_mov_b32_e32 v14, 0
	s_mov_b64 s[4:5], 0
	s_mov_b32 s19, 0
	s_mov_b64 s[6:7], 0
	.p2align	6
.LBB3_154:                              ;   Parent Loop BB3_143 Depth=1
                                        ; =>  This Inner Loop Header: Depth=2
	v_add_co_u32 v15, vcc_lo, v25, s6
	v_add_co_ci_u32_e32 v16, vcc_lo, s7, v26, vcc_lo
	s_add_u32 s6, s6, 1
	s_addc_u32 s7, s7, 0
	v_cmp_eq_u32_e32 vcc_lo, s6, v9
	flat_load_ubyte v15, v[15:16]
	v_mov_b32_e32 v16, s18
	s_waitcnt vmcnt(0) lgkmcnt(0)
	v_and_b32_e32 v15, 0xffff, v15
	v_lshlrev_b64 v[15:16], s4, v[15:16]
	s_add_u32 s4, s4, 8
	s_addc_u32 s5, s5, 0
	s_or_b32 s19, vcc_lo, s19
	v_or_b32_e32 v14, v16, v14
	v_or_b32_e32 v13, v15, v13
	s_andn2_b32 exec_lo, exec_lo, s19
	s_cbranch_execnz .LBB3_154
; %bb.155:                              ;   in Loop: Header=BB3_143 Depth=1
	s_or_b32 exec_lo, exec_lo, s19
.LBB3_156:                              ;   in Loop: Header=BB3_143 Depth=1
	s_or_b32 exec_lo, exec_lo, s11
	s_mov_b32 s5, 0
                                        ; implicit-def: $vgpr9
.LBB3_157:                              ;   in Loop: Header=BB3_143 Depth=1
	s_or_saveexec_b32 s4, s10
	v_mov_b32_e32 v17, s5
	s_xor_b32 exec_lo, exec_lo, s4
	s_cbranch_execz .LBB3_159
; %bb.158:                              ;   in Loop: Header=BB3_143 Depth=1
	flat_load_dwordx2 v[13:14], v[25:26]
	v_add_co_u32 v25, vcc_lo, v25, 8
	v_add_nc_u32_e32 v17, -8, v9
	v_add_co_ci_u32_e32 v26, vcc_lo, 0, v26, vcc_lo
	s_waitcnt vmcnt(0) lgkmcnt(0)
	v_and_b32_e32 v15, 0xff, v14
	v_and_b32_e32 v16, 0xff00, v14
	;; [unrolled: 1-line block ×4, first 2 shown]
	v_or3_b32 v13, v13, 0, 0
	v_or_b32_e32 v15, v15, v16
	v_or3_b32 v14, v15, v18, v14
.LBB3_159:                              ;   in Loop: Header=BB3_143 Depth=1
	s_or_b32 exec_lo, exec_lo, s4
                                        ; implicit-def: $sgpr5
	s_mov_b32 s4, exec_lo
	v_cmpx_gt_u32_e32 8, v17
	s_xor_b32 s10, exec_lo, s4
	s_cbranch_execz .LBB3_165
; %bb.160:                              ;   in Loop: Header=BB3_143 Depth=1
	v_mov_b32_e32 v15, 0
	v_mov_b32_e32 v16, 0
	s_mov_b32 s11, exec_lo
	v_cmpx_ne_u32_e32 0, v17
	s_cbranch_execz .LBB3_164
; %bb.161:                              ;   in Loop: Header=BB3_143 Depth=1
	v_mov_b32_e32 v15, 0
	v_mov_b32_e32 v16, 0
	s_mov_b64 s[4:5], 0
	s_mov_b32 s19, 0
	s_mov_b64 s[6:7], 0
	.p2align	6
.LBB3_162:                              ;   Parent Loop BB3_143 Depth=1
                                        ; =>  This Inner Loop Header: Depth=2
	v_add_co_u32 v18, vcc_lo, v25, s6
	v_add_co_ci_u32_e32 v19, vcc_lo, s7, v26, vcc_lo
	s_add_u32 s6, s6, 1
	s_addc_u32 s7, s7, 0
	v_cmp_eq_u32_e32 vcc_lo, s6, v17
	flat_load_ubyte v9, v[18:19]
	v_mov_b32_e32 v19, s18
	s_waitcnt vmcnt(0) lgkmcnt(0)
	v_and_b32_e32 v18, 0xffff, v9
	v_lshlrev_b64 v[18:19], s4, v[18:19]
	s_add_u32 s4, s4, 8
	s_addc_u32 s5, s5, 0
	s_or_b32 s19, vcc_lo, s19
	v_or_b32_e32 v16, v19, v16
	v_or_b32_e32 v15, v18, v15
	s_andn2_b32 exec_lo, exec_lo, s19
	s_cbranch_execnz .LBB3_162
; %bb.163:                              ;   in Loop: Header=BB3_143 Depth=1
	s_or_b32 exec_lo, exec_lo, s19
.LBB3_164:                              ;   in Loop: Header=BB3_143 Depth=1
	s_or_b32 exec_lo, exec_lo, s11
	s_mov_b32 s5, 0
                                        ; implicit-def: $vgpr17
.LBB3_165:                              ;   in Loop: Header=BB3_143 Depth=1
	s_or_saveexec_b32 s4, s10
	v_mov_b32_e32 v9, s5
	s_xor_b32 exec_lo, exec_lo, s4
	s_cbranch_execz .LBB3_167
; %bb.166:                              ;   in Loop: Header=BB3_143 Depth=1
	flat_load_dwordx2 v[15:16], v[25:26]
	v_add_co_u32 v25, vcc_lo, v25, 8
	v_add_co_ci_u32_e32 v26, vcc_lo, 0, v26, vcc_lo
	s_waitcnt vmcnt(0) lgkmcnt(0)
	v_and_b32_e32 v9, 0xff, v16
	v_and_b32_e32 v18, 0xff00, v16
	;; [unrolled: 1-line block ×4, first 2 shown]
	v_or3_b32 v15, v15, 0, 0
	v_or_b32_e32 v18, v9, v18
	v_add_nc_u32_e32 v9, -8, v17
	v_or3_b32 v16, v18, v19, v16
.LBB3_167:                              ;   in Loop: Header=BB3_143 Depth=1
	s_or_b32 exec_lo, exec_lo, s4
                                        ; implicit-def: $vgpr17_vgpr18
                                        ; implicit-def: $sgpr5
	s_mov_b32 s4, exec_lo
	v_cmpx_gt_u32_e32 8, v9
	s_xor_b32 s10, exec_lo, s4
	s_cbranch_execz .LBB3_173
; %bb.168:                              ;   in Loop: Header=BB3_143 Depth=1
	v_mov_b32_e32 v17, 0
	v_mov_b32_e32 v18, 0
	s_mov_b32 s11, exec_lo
	v_cmpx_ne_u32_e32 0, v9
	s_cbranch_execz .LBB3_172
; %bb.169:                              ;   in Loop: Header=BB3_143 Depth=1
	v_mov_b32_e32 v17, 0
	v_mov_b32_e32 v18, 0
	s_mov_b64 s[4:5], 0
	s_mov_b32 s19, 0
	s_mov_b64 s[6:7], 0
	.p2align	6
.LBB3_170:                              ;   Parent Loop BB3_143 Depth=1
                                        ; =>  This Inner Loop Header: Depth=2
	v_add_co_u32 v19, vcc_lo, v25, s6
	v_add_co_ci_u32_e32 v20, vcc_lo, s7, v26, vcc_lo
	s_add_u32 s6, s6, 1
	s_addc_u32 s7, s7, 0
	v_cmp_eq_u32_e32 vcc_lo, s6, v9
	flat_load_ubyte v19, v[19:20]
	v_mov_b32_e32 v20, s18
	s_waitcnt vmcnt(0) lgkmcnt(0)
	v_and_b32_e32 v19, 0xffff, v19
	v_lshlrev_b64 v[19:20], s4, v[19:20]
	s_add_u32 s4, s4, 8
	s_addc_u32 s5, s5, 0
	s_or_b32 s19, vcc_lo, s19
	v_or_b32_e32 v18, v20, v18
	v_or_b32_e32 v17, v19, v17
	s_andn2_b32 exec_lo, exec_lo, s19
	s_cbranch_execnz .LBB3_170
; %bb.171:                              ;   in Loop: Header=BB3_143 Depth=1
	s_or_b32 exec_lo, exec_lo, s19
.LBB3_172:                              ;   in Loop: Header=BB3_143 Depth=1
	s_or_b32 exec_lo, exec_lo, s11
	s_mov_b32 s5, 0
                                        ; implicit-def: $vgpr9
.LBB3_173:                              ;   in Loop: Header=BB3_143 Depth=1
	s_or_saveexec_b32 s4, s10
	v_mov_b32_e32 v21, s5
	s_xor_b32 exec_lo, exec_lo, s4
	s_cbranch_execz .LBB3_175
; %bb.174:                              ;   in Loop: Header=BB3_143 Depth=1
	flat_load_dwordx2 v[17:18], v[25:26]
	v_add_co_u32 v25, vcc_lo, v25, 8
	v_add_nc_u32_e32 v21, -8, v9
	v_add_co_ci_u32_e32 v26, vcc_lo, 0, v26, vcc_lo
	s_waitcnt vmcnt(0) lgkmcnt(0)
	v_and_b32_e32 v19, 0xff, v18
	v_and_b32_e32 v20, 0xff00, v18
	;; [unrolled: 1-line block ×4, first 2 shown]
	v_or3_b32 v17, v17, 0, 0
	v_or_b32_e32 v19, v19, v20
	v_or3_b32 v18, v19, v22, v18
.LBB3_175:                              ;   in Loop: Header=BB3_143 Depth=1
	s_or_b32 exec_lo, exec_lo, s4
                                        ; implicit-def: $sgpr5
	s_mov_b32 s4, exec_lo
	v_cmpx_gt_u32_e32 8, v21
	s_xor_b32 s10, exec_lo, s4
	s_cbranch_execz .LBB3_181
; %bb.176:                              ;   in Loop: Header=BB3_143 Depth=1
	v_mov_b32_e32 v19, 0
	v_mov_b32_e32 v20, 0
	s_mov_b32 s11, exec_lo
	v_cmpx_ne_u32_e32 0, v21
	s_cbranch_execz .LBB3_180
; %bb.177:                              ;   in Loop: Header=BB3_143 Depth=1
	v_mov_b32_e32 v19, 0
	v_mov_b32_e32 v20, 0
	s_mov_b64 s[4:5], 0
	s_mov_b32 s19, 0
	s_mov_b64 s[6:7], 0
	.p2align	6
.LBB3_178:                              ;   Parent Loop BB3_143 Depth=1
                                        ; =>  This Inner Loop Header: Depth=2
	v_add_co_u32 v22, vcc_lo, v25, s6
	v_add_co_ci_u32_e32 v23, vcc_lo, s7, v26, vcc_lo
	s_add_u32 s6, s6, 1
	s_addc_u32 s7, s7, 0
	v_cmp_eq_u32_e32 vcc_lo, s6, v21
	flat_load_ubyte v9, v[22:23]
	v_mov_b32_e32 v23, s18
	s_waitcnt vmcnt(0) lgkmcnt(0)
	v_and_b32_e32 v22, 0xffff, v9
	v_lshlrev_b64 v[22:23], s4, v[22:23]
	s_add_u32 s4, s4, 8
	s_addc_u32 s5, s5, 0
	s_or_b32 s19, vcc_lo, s19
	v_or_b32_e32 v20, v23, v20
	v_or_b32_e32 v19, v22, v19
	s_andn2_b32 exec_lo, exec_lo, s19
	s_cbranch_execnz .LBB3_178
; %bb.179:                              ;   in Loop: Header=BB3_143 Depth=1
	s_or_b32 exec_lo, exec_lo, s19
.LBB3_180:                              ;   in Loop: Header=BB3_143 Depth=1
	s_or_b32 exec_lo, exec_lo, s11
	s_mov_b32 s5, 0
                                        ; implicit-def: $vgpr21
.LBB3_181:                              ;   in Loop: Header=BB3_143 Depth=1
	s_or_saveexec_b32 s4, s10
	v_mov_b32_e32 v9, s5
	s_xor_b32 exec_lo, exec_lo, s4
	s_cbranch_execz .LBB3_183
; %bb.182:                              ;   in Loop: Header=BB3_143 Depth=1
	flat_load_dwordx2 v[19:20], v[25:26]
	v_add_co_u32 v25, vcc_lo, v25, 8
	v_add_co_ci_u32_e32 v26, vcc_lo, 0, v26, vcc_lo
	s_waitcnt vmcnt(0) lgkmcnt(0)
	v_and_b32_e32 v9, 0xff, v20
	v_and_b32_e32 v22, 0xff00, v20
	;; [unrolled: 1-line block ×4, first 2 shown]
	v_or3_b32 v19, v19, 0, 0
	v_or_b32_e32 v22, v9, v22
	v_add_nc_u32_e32 v9, -8, v21
	v_or3_b32 v20, v22, v23, v20
.LBB3_183:                              ;   in Loop: Header=BB3_143 Depth=1
	s_or_b32 exec_lo, exec_lo, s4
                                        ; implicit-def: $vgpr21_vgpr22
                                        ; implicit-def: $sgpr5
	s_mov_b32 s4, exec_lo
	v_cmpx_gt_u32_e32 8, v9
	s_xor_b32 s10, exec_lo, s4
	s_cbranch_execz .LBB3_189
; %bb.184:                              ;   in Loop: Header=BB3_143 Depth=1
	v_mov_b32_e32 v21, 0
	v_mov_b32_e32 v22, 0
	s_mov_b32 s11, exec_lo
	v_cmpx_ne_u32_e32 0, v9
	s_cbranch_execz .LBB3_188
; %bb.185:                              ;   in Loop: Header=BB3_143 Depth=1
	v_mov_b32_e32 v21, 0
	v_mov_b32_e32 v22, 0
	s_mov_b64 s[4:5], 0
	s_mov_b32 s19, 0
	s_mov_b64 s[6:7], 0
	.p2align	6
.LBB3_186:                              ;   Parent Loop BB3_143 Depth=1
                                        ; =>  This Inner Loop Header: Depth=2
	v_add_co_u32 v23, vcc_lo, v25, s6
	v_add_co_ci_u32_e32 v24, vcc_lo, s7, v26, vcc_lo
	s_add_u32 s6, s6, 1
	s_addc_u32 s7, s7, 0
	v_cmp_eq_u32_e32 vcc_lo, s6, v9
	flat_load_ubyte v23, v[23:24]
	v_mov_b32_e32 v24, s18
	s_waitcnt vmcnt(0) lgkmcnt(0)
	v_and_b32_e32 v23, 0xffff, v23
	v_lshlrev_b64 v[23:24], s4, v[23:24]
	s_add_u32 s4, s4, 8
	s_addc_u32 s5, s5, 0
	s_or_b32 s19, vcc_lo, s19
	v_or_b32_e32 v22, v24, v22
	v_or_b32_e32 v21, v23, v21
	s_andn2_b32 exec_lo, exec_lo, s19
	s_cbranch_execnz .LBB3_186
; %bb.187:                              ;   in Loop: Header=BB3_143 Depth=1
	s_or_b32 exec_lo, exec_lo, s19
.LBB3_188:                              ;   in Loop: Header=BB3_143 Depth=1
	s_or_b32 exec_lo, exec_lo, s11
	s_mov_b32 s5, 0
                                        ; implicit-def: $vgpr9
.LBB3_189:                              ;   in Loop: Header=BB3_143 Depth=1
	s_or_saveexec_b32 s4, s10
	v_mov_b32_e32 v27, s5
	s_xor_b32 exec_lo, exec_lo, s4
	s_cbranch_execz .LBB3_191
; %bb.190:                              ;   in Loop: Header=BB3_143 Depth=1
	flat_load_dwordx2 v[21:22], v[25:26]
	v_add_co_u32 v25, vcc_lo, v25, 8
	v_add_nc_u32_e32 v27, -8, v9
	v_add_co_ci_u32_e32 v26, vcc_lo, 0, v26, vcc_lo
	s_waitcnt vmcnt(0) lgkmcnt(0)
	v_and_b32_e32 v23, 0xff, v22
	v_and_b32_e32 v24, 0xff00, v22
	;; [unrolled: 1-line block ×4, first 2 shown]
	v_or3_b32 v21, v21, 0, 0
	v_or_b32_e32 v23, v23, v24
	v_or3_b32 v22, v23, v28, v22
.LBB3_191:                              ;   in Loop: Header=BB3_143 Depth=1
	s_or_b32 exec_lo, exec_lo, s4
	s_mov_b32 s4, exec_lo
	v_cmpx_gt_u32_e32 8, v27
	s_xor_b32 s6, exec_lo, s4
	s_cbranch_execz .LBB3_197
; %bb.192:                              ;   in Loop: Header=BB3_143 Depth=1
	v_mov_b32_e32 v23, 0
	v_mov_b32_e32 v24, 0
	s_mov_b32 s7, exec_lo
	v_cmpx_ne_u32_e32 0, v27
	s_cbranch_execz .LBB3_196
; %bb.193:                              ;   in Loop: Header=BB3_143 Depth=1
	v_mov_b32_e32 v23, 0
	v_mov_b32_e32 v24, 0
	s_mov_b64 s[4:5], 0
	s_mov_b32 s10, 0
	.p2align	6
.LBB3_194:                              ;   Parent Loop BB3_143 Depth=1
                                        ; =>  This Inner Loop Header: Depth=2
	flat_load_ubyte v9, v[25:26]
	v_mov_b32_e32 v34, s18
	v_add_nc_u32_e32 v27, -1, v27
	v_add_co_u32 v25, vcc_lo, v25, 1
	v_add_co_ci_u32_e32 v26, vcc_lo, 0, v26, vcc_lo
	v_cmp_eq_u32_e32 vcc_lo, 0, v27
	s_waitcnt vmcnt(0) lgkmcnt(0)
	v_and_b32_e32 v33, 0xffff, v9
	v_lshlrev_b64 v[33:34], s4, v[33:34]
	s_add_u32 s4, s4, 8
	s_addc_u32 s5, s5, 0
	s_or_b32 s10, vcc_lo, s10
	v_or_b32_e32 v24, v34, v24
	v_or_b32_e32 v23, v33, v23
	s_andn2_b32 exec_lo, exec_lo, s10
	s_cbranch_execnz .LBB3_194
; %bb.195:                              ;   in Loop: Header=BB3_143 Depth=1
	s_or_b32 exec_lo, exec_lo, s10
.LBB3_196:                              ;   in Loop: Header=BB3_143 Depth=1
	s_or_b32 exec_lo, exec_lo, s7
                                        ; implicit-def: $vgpr25_vgpr26
.LBB3_197:                              ;   in Loop: Header=BB3_143 Depth=1
	s_andn2_saveexec_b32 s4, s6
	s_cbranch_execz .LBB3_199
; %bb.198:                              ;   in Loop: Header=BB3_143 Depth=1
	flat_load_dwordx2 v[23:24], v[25:26]
	s_waitcnt vmcnt(0) lgkmcnt(0)
	v_and_b32_e32 v9, 0xff, v24
	v_and_b32_e32 v25, 0xff00, v24
	;; [unrolled: 1-line block ×4, first 2 shown]
	v_or3_b32 v23, v23, 0, 0
	v_or_b32_e32 v9, v9, v25
	v_or3_b32 v24, v9, v26, v24
.LBB3_199:                              ;   in Loop: Header=BB3_143 Depth=1
	s_or_b32 exec_lo, exec_lo, s4
	v_readfirstlane_b32 s4, v51
	v_mov_b32_e32 v33, 0
	v_mov_b32_e32 v34, 0
	v_cmp_eq_u32_e64 s4, s4, v51
	s_and_saveexec_b32 s5, s4
	s_cbranch_execz .LBB3_205
; %bb.200:                              ;   in Loop: Header=BB3_143 Depth=1
	global_load_dwordx2 v[27:28], v10, s[38:39] offset:24 glc dlc
	s_waitcnt vmcnt(0)
	buffer_gl1_inv
	buffer_gl0_inv
	s_clause 0x1
	global_load_dwordx2 v[25:26], v10, s[38:39] offset:40
	global_load_dwordx2 v[33:34], v10, s[38:39]
	s_mov_b32 s6, exec_lo
	s_waitcnt vmcnt(1)
	v_and_b32_e32 v9, v26, v28
	v_and_b32_e32 v25, v25, v27
	v_mul_lo_u32 v9, v9, 24
	v_mul_hi_u32 v26, v25, 24
	v_mul_lo_u32 v25, v25, 24
	v_add_nc_u32_e32 v9, v26, v9
	s_waitcnt vmcnt(0)
	v_add_co_u32 v25, vcc_lo, v33, v25
	v_add_co_ci_u32_e32 v26, vcc_lo, v34, v9, vcc_lo
	global_load_dwordx2 v[25:26], v[25:26], off glc dlc
	s_waitcnt vmcnt(0)
	global_atomic_cmpswap_x2 v[33:34], v10, v[25:28], s[38:39] offset:24 glc
	s_waitcnt vmcnt(0)
	buffer_gl1_inv
	buffer_gl0_inv
	v_cmpx_ne_u64_e64 v[33:34], v[27:28]
	s_cbranch_execz .LBB3_204
; %bb.201:                              ;   in Loop: Header=BB3_143 Depth=1
	s_mov_b32 s7, 0
	.p2align	6
.LBB3_202:                              ;   Parent Loop BB3_143 Depth=1
                                        ; =>  This Inner Loop Header: Depth=2
	s_sleep 1
	s_clause 0x1
	global_load_dwordx2 v[25:26], v10, s[38:39] offset:40
	global_load_dwordx2 v[38:39], v10, s[38:39]
	v_mov_b32_e32 v27, v33
	v_mov_b32_e32 v28, v34
	s_waitcnt vmcnt(1)
	v_and_b32_e32 v9, v25, v27
	v_and_b32_e32 v25, v26, v28
	s_waitcnt vmcnt(0)
	v_mad_u64_u32 v[33:34], null, v9, 24, v[38:39]
	v_mov_b32_e32 v9, v34
	v_mad_u64_u32 v[25:26], null, v25, 24, v[9:10]
	v_mov_b32_e32 v34, v25
	global_load_dwordx2 v[25:26], v[33:34], off glc dlc
	s_waitcnt vmcnt(0)
	global_atomic_cmpswap_x2 v[33:34], v10, v[25:28], s[38:39] offset:24 glc
	s_waitcnt vmcnt(0)
	buffer_gl1_inv
	buffer_gl0_inv
	v_cmp_eq_u64_e32 vcc_lo, v[33:34], v[27:28]
	s_or_b32 s7, vcc_lo, s7
	s_andn2_b32 exec_lo, exec_lo, s7
	s_cbranch_execnz .LBB3_202
; %bb.203:                              ;   in Loop: Header=BB3_143 Depth=1
	s_or_b32 exec_lo, exec_lo, s7
.LBB3_204:                              ;   in Loop: Header=BB3_143 Depth=1
	s_or_b32 exec_lo, exec_lo, s6
.LBB3_205:                              ;   in Loop: Header=BB3_143 Depth=1
	s_or_b32 exec_lo, exec_lo, s5
	s_clause 0x1
	global_load_dwordx2 v[38:39], v10, s[38:39] offset:40
	global_load_dwordx4 v[25:28], v10, s[38:39]
	v_readfirstlane_b32 s6, v33
	v_readfirstlane_b32 s7, v34
	s_mov_b32 s5, exec_lo
	s_waitcnt vmcnt(1)
	v_readfirstlane_b32 s10, v38
	v_readfirstlane_b32 s11, v39
	s_and_b64 s[10:11], s[6:7], s[10:11]
	s_mul_i32 s19, s11, 24
	s_mul_hi_u32 s20, s10, 24
	s_mul_i32 s21, s10, 24
	s_add_i32 s20, s20, s19
	s_waitcnt vmcnt(0)
	v_add_co_u32 v33, vcc_lo, v25, s21
	v_add_co_ci_u32_e32 v34, vcc_lo, s20, v26, vcc_lo
	s_and_saveexec_b32 s19, s4
	s_cbranch_execz .LBB3_207
; %bb.206:                              ;   in Loop: Header=BB3_143 Depth=1
	v_mov_b32_e32 v9, s5
	global_store_dwordx4 v[33:34], v[9:12], off offset:8
.LBB3_207:                              ;   in Loop: Header=BB3_143 Depth=1
	s_or_b32 exec_lo, exec_lo, s19
	s_lshl_b64 s[10:11], s[10:11], 12
	v_or_b32_e32 v9, 2, v0
	v_add_co_u32 v27, vcc_lo, v27, s10
	v_add_co_ci_u32_e32 v28, vcc_lo, s11, v28, vcc_lo
	v_cmp_lt_u64_e32 vcc_lo, 56, v[29:30]
	v_lshl_add_u32 v35, v31, 2, 28
	v_readfirstlane_b32 s10, v27
	v_readfirstlane_b32 s11, v28
	v_cndmask_b32_e32 v0, v9, v0, vcc_lo
	v_and_b32_e32 v9, 0x1e0, v35
	v_and_or_b32 v0, 0xffffff1f, v0, v9
	global_store_dwordx4 v50, v[13:16], s[10:11] offset:16
	global_store_dwordx4 v50, v[17:20], s[10:11] offset:32
	global_store_dwordx4 v50, v[0:3], s[10:11]
	global_store_dwordx4 v50, v[21:24], s[10:11] offset:48
	s_and_saveexec_b32 s5, s4
	s_cbranch_execz .LBB3_215
; %bb.208:                              ;   in Loop: Header=BB3_143 Depth=1
	s_clause 0x1
	global_load_dwordx2 v[17:18], v10, s[38:39] offset:32 glc dlc
	global_load_dwordx2 v[0:1], v10, s[38:39] offset:40
	v_mov_b32_e32 v15, s6
	v_mov_b32_e32 v16, s7
	s_waitcnt vmcnt(0)
	v_readfirstlane_b32 s10, v0
	v_readfirstlane_b32 s11, v1
	s_and_b64 s[10:11], s[10:11], s[6:7]
	s_mul_i32 s11, s11, 24
	s_mul_hi_u32 s19, s10, 24
	s_mul_i32 s10, s10, 24
	s_add_i32 s19, s19, s11
	v_add_co_u32 v13, vcc_lo, v25, s10
	v_add_co_ci_u32_e32 v14, vcc_lo, s19, v26, vcc_lo
	s_mov_b32 s10, exec_lo
	global_store_dwordx2 v[13:14], v[17:18], off
	s_waitcnt_vscnt null, 0x0
	global_atomic_cmpswap_x2 v[2:3], v10, v[15:18], s[38:39] offset:32 glc
	s_waitcnt vmcnt(0)
	v_cmpx_ne_u64_e64 v[2:3], v[17:18]
	s_cbranch_execz .LBB3_211
; %bb.209:                              ;   in Loop: Header=BB3_143 Depth=1
	s_mov_b32 s11, 0
.LBB3_210:                              ;   Parent Loop BB3_143 Depth=1
                                        ; =>  This Inner Loop Header: Depth=2
	v_mov_b32_e32 v0, s6
	v_mov_b32_e32 v1, s7
	s_sleep 1
	global_store_dwordx2 v[13:14], v[2:3], off
	s_waitcnt_vscnt null, 0x0
	global_atomic_cmpswap_x2 v[0:1], v10, v[0:3], s[38:39] offset:32 glc
	s_waitcnt vmcnt(0)
	v_cmp_eq_u64_e32 vcc_lo, v[0:1], v[2:3]
	v_mov_b32_e32 v3, v1
	v_mov_b32_e32 v2, v0
	s_or_b32 s11, vcc_lo, s11
	s_andn2_b32 exec_lo, exec_lo, s11
	s_cbranch_execnz .LBB3_210
.LBB3_211:                              ;   in Loop: Header=BB3_143 Depth=1
	s_or_b32 exec_lo, exec_lo, s10
	global_load_dwordx2 v[0:1], v10, s[38:39] offset:16
	s_mov_b32 s11, exec_lo
	s_mov_b32 s10, exec_lo
	v_mbcnt_lo_u32_b32 v2, s11, 0
	v_cmpx_eq_u32_e32 0, v2
	s_cbranch_execz .LBB3_213
; %bb.212:                              ;   in Loop: Header=BB3_143 Depth=1
	s_bcnt1_i32_b32 s11, s11
	v_mov_b32_e32 v9, s11
	s_waitcnt vmcnt(0)
	global_atomic_add_x2 v[0:1], v[9:10], off offset:8
.LBB3_213:                              ;   in Loop: Header=BB3_143 Depth=1
	s_or_b32 exec_lo, exec_lo, s10
	s_waitcnt vmcnt(0)
	global_load_dwordx2 v[2:3], v[0:1], off offset:16
	s_waitcnt vmcnt(0)
	v_cmp_eq_u64_e32 vcc_lo, 0, v[2:3]
	s_cbranch_vccnz .LBB3_215
; %bb.214:                              ;   in Loop: Header=BB3_143 Depth=1
	global_load_dword v9, v[0:1], off offset:24
	s_waitcnt vmcnt(0)
	v_and_b32_e32 v0, 0x7fffff, v9
	s_waitcnt_vscnt null, 0x0
	global_store_dwordx2 v[2:3], v[9:10], off
	v_readfirstlane_b32 m0, v0
	s_sendmsg sendmsg(MSG_INTERRUPT)
.LBB3_215:                              ;   in Loop: Header=BB3_143 Depth=1
	s_or_b32 exec_lo, exec_lo, s5
	v_add_co_u32 v0, vcc_lo, v27, v50
	v_add_co_ci_u32_e32 v1, vcc_lo, 0, v28, vcc_lo
	s_branch .LBB3_219
	.p2align	6
.LBB3_216:                              ;   in Loop: Header=BB3_219 Depth=2
	s_or_b32 exec_lo, exec_lo, s5
	v_readfirstlane_b32 s5, v2
	s_cmp_eq_u32 s5, 0
	s_cbranch_scc1 .LBB3_218
; %bb.217:                              ;   in Loop: Header=BB3_219 Depth=2
	s_sleep 1
	s_cbranch_execnz .LBB3_219
	s_branch .LBB3_221
	.p2align	6
.LBB3_218:                              ;   in Loop: Header=BB3_143 Depth=1
	s_branch .LBB3_221
.LBB3_219:                              ;   Parent Loop BB3_143 Depth=1
                                        ; =>  This Inner Loop Header: Depth=2
	v_mov_b32_e32 v2, 1
	s_and_saveexec_b32 s5, s4
	s_cbranch_execz .LBB3_216
; %bb.220:                              ;   in Loop: Header=BB3_219 Depth=2
	global_load_dword v2, v[33:34], off offset:20 glc dlc
	s_waitcnt vmcnt(0)
	buffer_gl1_inv
	buffer_gl0_inv
	v_and_b32_e32 v2, 1, v2
	s_branch .LBB3_216
.LBB3_221:                              ;   in Loop: Header=BB3_143 Depth=1
	global_load_dwordx4 v[0:3], v[0:1], off
	s_and_saveexec_b32 s5, s4
	s_cbranch_execz .LBB3_142
; %bb.222:                              ;   in Loop: Header=BB3_143 Depth=1
	s_clause 0x2
	global_load_dwordx2 v[2:3], v10, s[38:39] offset:40
	global_load_dwordx2 v[17:18], v10, s[38:39] offset:24 glc dlc
	global_load_dwordx2 v[15:16], v10, s[38:39]
	s_waitcnt vmcnt(2)
	v_add_co_u32 v9, vcc_lo, v2, 1
	v_add_co_ci_u32_e32 v19, vcc_lo, 0, v3, vcc_lo
	v_add_co_u32 v13, vcc_lo, v9, s6
	v_add_co_ci_u32_e32 v14, vcc_lo, s7, v19, vcc_lo
	v_cmp_eq_u64_e32 vcc_lo, 0, v[13:14]
	v_cndmask_b32_e32 v14, v14, v19, vcc_lo
	v_cndmask_b32_e32 v13, v13, v9, vcc_lo
	v_and_b32_e32 v3, v14, v3
	v_and_b32_e32 v2, v13, v2
	v_mul_lo_u32 v3, v3, 24
	v_mul_hi_u32 v9, v2, 24
	v_mul_lo_u32 v2, v2, 24
	v_add_nc_u32_e32 v3, v9, v3
	s_waitcnt vmcnt(0)
	v_add_co_u32 v2, vcc_lo, v15, v2
	v_mov_b32_e32 v15, v17
	v_add_co_ci_u32_e32 v3, vcc_lo, v16, v3, vcc_lo
	v_mov_b32_e32 v16, v18
	global_store_dwordx2 v[2:3], v[17:18], off
	s_waitcnt_vscnt null, 0x0
	global_atomic_cmpswap_x2 v[15:16], v10, v[13:16], s[38:39] offset:24 glc
	s_waitcnt vmcnt(0)
	v_cmp_ne_u64_e32 vcc_lo, v[15:16], v[17:18]
	s_and_b32 exec_lo, exec_lo, vcc_lo
	s_cbranch_execz .LBB3_142
; %bb.223:                              ;   in Loop: Header=BB3_143 Depth=1
	s_mov_b32 s4, 0
.LBB3_224:                              ;   Parent Loop BB3_143 Depth=1
                                        ; =>  This Inner Loop Header: Depth=2
	s_sleep 1
	global_store_dwordx2 v[2:3], v[15:16], off
	s_waitcnt_vscnt null, 0x0
	global_atomic_cmpswap_x2 v[17:18], v10, v[13:16], s[38:39] offset:24 glc
	s_waitcnt vmcnt(0)
	v_cmp_eq_u64_e32 vcc_lo, v[17:18], v[15:16]
	v_mov_b32_e32 v15, v17
	v_mov_b32_e32 v16, v18
	s_or_b32 s4, vcc_lo, s4
	s_andn2_b32 exec_lo, exec_lo, s4
	s_cbranch_execnz .LBB3_224
	s_branch .LBB3_142
.LBB3_225:
	s_or_b32 exec_lo, exec_lo, s17
                                        ; implicit-def: $vgpr0_vgpr1
	s_andn2_saveexec_b32 s5, s16
	s_cbranch_execz .LBB3_253
.LBB3_226:
	v_readfirstlane_b32 s4, v51
	v_mov_b32_e32 v6, 0
	v_mov_b32_e32 v7, 0
	v_cmp_eq_u32_e64 s4, s4, v51
	s_and_saveexec_b32 s6, s4
	s_cbranch_execz .LBB3_232
; %bb.227:
	s_waitcnt vmcnt(0)
	v_mov_b32_e32 v2, 0
	s_mov_b32 s7, exec_lo
	global_load_dwordx2 v[11:12], v2, s[38:39] offset:24 glc dlc
	s_waitcnt vmcnt(0)
	buffer_gl1_inv
	buffer_gl0_inv
	s_clause 0x1
	global_load_dwordx2 v[6:7], v2, s[38:39] offset:40
	global_load_dwordx2 v[9:10], v2, s[38:39]
	s_waitcnt vmcnt(1)
	v_and_b32_e32 v3, v7, v12
	v_and_b32_e32 v6, v6, v11
	v_mul_lo_u32 v3, v3, 24
	v_mul_hi_u32 v7, v6, 24
	v_mul_lo_u32 v6, v6, 24
	v_add_nc_u32_e32 v3, v7, v3
	s_waitcnt vmcnt(0)
	v_add_co_u32 v6, vcc_lo, v9, v6
	v_add_co_ci_u32_e32 v7, vcc_lo, v10, v3, vcc_lo
	global_load_dwordx2 v[9:10], v[6:7], off glc dlc
	s_waitcnt vmcnt(0)
	global_atomic_cmpswap_x2 v[6:7], v2, v[9:12], s[38:39] offset:24 glc
	s_waitcnt vmcnt(0)
	buffer_gl1_inv
	buffer_gl0_inv
	v_cmpx_ne_u64_e64 v[6:7], v[11:12]
	s_cbranch_execz .LBB3_231
; %bb.228:
	s_mov_b32 s10, 0
	.p2align	6
.LBB3_229:                              ; =>This Inner Loop Header: Depth=1
	s_sleep 1
	s_clause 0x1
	global_load_dwordx2 v[9:10], v2, s[38:39] offset:40
	global_load_dwordx2 v[13:14], v2, s[38:39]
	v_mov_b32_e32 v12, v7
	v_mov_b32_e32 v11, v6
	s_waitcnt vmcnt(1)
	v_and_b32_e32 v3, v9, v11
	v_and_b32_e32 v9, v10, v12
	s_waitcnt vmcnt(0)
	v_mad_u64_u32 v[6:7], null, v3, 24, v[13:14]
	v_mov_b32_e32 v3, v7
	v_mad_u64_u32 v[9:10], null, v9, 24, v[3:4]
	v_mov_b32_e32 v7, v9
	global_load_dwordx2 v[9:10], v[6:7], off glc dlc
	s_waitcnt vmcnt(0)
	global_atomic_cmpswap_x2 v[6:7], v2, v[9:12], s[38:39] offset:24 glc
	s_waitcnt vmcnt(0)
	buffer_gl1_inv
	buffer_gl0_inv
	v_cmp_eq_u64_e32 vcc_lo, v[6:7], v[11:12]
	s_or_b32 s10, vcc_lo, s10
	s_andn2_b32 exec_lo, exec_lo, s10
	s_cbranch_execnz .LBB3_229
; %bb.230:
	s_or_b32 exec_lo, exec_lo, s10
.LBB3_231:
	s_or_b32 exec_lo, exec_lo, s7
.LBB3_232:
	s_or_b32 exec_lo, exec_lo, s6
	s_waitcnt vmcnt(0)
	v_mov_b32_e32 v2, 0
	v_readfirstlane_b32 s6, v6
	v_readfirstlane_b32 s7, v7
	s_mov_b32 s16, exec_lo
	s_clause 0x1
	global_load_dwordx2 v[13:14], v2, s[38:39] offset:40
	global_load_dwordx4 v[9:12], v2, s[38:39]
	s_waitcnt vmcnt(1)
	v_readfirstlane_b32 s10, v13
	v_readfirstlane_b32 s11, v14
	s_and_b64 s[10:11], s[6:7], s[10:11]
	s_mul_i32 s17, s11, 24
	s_mul_hi_u32 s18, s10, 24
	s_mul_i32 s19, s10, 24
	s_add_i32 s18, s18, s17
	s_waitcnt vmcnt(0)
	v_add_co_u32 v6, vcc_lo, v9, s19
	v_add_co_ci_u32_e32 v7, vcc_lo, s18, v10, vcc_lo
	s_and_saveexec_b32 s17, s4
	s_cbranch_execz .LBB3_234
; %bb.233:
	v_mov_b32_e32 v13, s16
	v_mov_b32_e32 v14, v2
	;; [unrolled: 1-line block ×4, first 2 shown]
	global_store_dwordx4 v[6:7], v[13:16], off offset:8
.LBB3_234:
	s_or_b32 exec_lo, exec_lo, s17
	s_lshl_b64 s[10:11], s[10:11], 12
	s_mov_b32 s16, 0
	v_add_co_u32 v11, vcc_lo, v11, s10
	v_add_co_ci_u32_e32 v12, vcc_lo, s11, v12, vcc_lo
	s_mov_b32 s17, s16
	s_mov_b32 s18, s16
	;; [unrolled: 1-line block ×3, first 2 shown]
	v_and_or_b32 v0, 0xffffff1d, v0, 34
	v_mov_b32_e32 v3, v2
	v_readfirstlane_b32 s10, v11
	v_readfirstlane_b32 s11, v12
	v_mov_b32_e32 v11, s16
	v_mov_b32_e32 v12, s17
	;; [unrolled: 1-line block ×4, first 2 shown]
	global_store_dwordx4 v50, v[0:3], s[10:11]
	global_store_dwordx4 v50, v[11:14], s[10:11] offset:16
	global_store_dwordx4 v50, v[11:14], s[10:11] offset:32
	;; [unrolled: 1-line block ×3, first 2 shown]
	s_and_saveexec_b32 s10, s4
	s_cbranch_execz .LBB3_242
; %bb.235:
	v_mov_b32_e32 v11, 0
	v_mov_b32_e32 v12, s6
	;; [unrolled: 1-line block ×3, first 2 shown]
	s_clause 0x1
	global_load_dwordx2 v[14:15], v11, s[38:39] offset:32 glc dlc
	global_load_dwordx2 v[0:1], v11, s[38:39] offset:40
	s_waitcnt vmcnt(0)
	v_readfirstlane_b32 s16, v0
	v_readfirstlane_b32 s17, v1
	s_and_b64 s[16:17], s[16:17], s[6:7]
	s_mul_i32 s11, s17, 24
	s_mul_hi_u32 s17, s16, 24
	s_mul_i32 s16, s16, 24
	s_add_i32 s17, s17, s11
	v_add_co_u32 v9, vcc_lo, v9, s16
	v_add_co_ci_u32_e32 v10, vcc_lo, s17, v10, vcc_lo
	s_mov_b32 s11, exec_lo
	global_store_dwordx2 v[9:10], v[14:15], off
	s_waitcnt_vscnt null, 0x0
	global_atomic_cmpswap_x2 v[2:3], v11, v[12:15], s[38:39] offset:32 glc
	s_waitcnt vmcnt(0)
	v_cmpx_ne_u64_e64 v[2:3], v[14:15]
	s_cbranch_execz .LBB3_238
; %bb.236:
	s_mov_b32 s16, 0
.LBB3_237:                              ; =>This Inner Loop Header: Depth=1
	v_mov_b32_e32 v0, s6
	v_mov_b32_e32 v1, s7
	s_sleep 1
	global_store_dwordx2 v[9:10], v[2:3], off
	s_waitcnt_vscnt null, 0x0
	global_atomic_cmpswap_x2 v[0:1], v11, v[0:3], s[38:39] offset:32 glc
	s_waitcnt vmcnt(0)
	v_cmp_eq_u64_e32 vcc_lo, v[0:1], v[2:3]
	v_mov_b32_e32 v3, v1
	v_mov_b32_e32 v2, v0
	s_or_b32 s16, vcc_lo, s16
	s_andn2_b32 exec_lo, exec_lo, s16
	s_cbranch_execnz .LBB3_237
.LBB3_238:
	s_or_b32 exec_lo, exec_lo, s11
	v_mov_b32_e32 v3, 0
	s_mov_b32 s16, exec_lo
	s_mov_b32 s11, exec_lo
	v_mbcnt_lo_u32_b32 v2, s16, 0
	global_load_dwordx2 v[0:1], v3, s[38:39] offset:16
	v_cmpx_eq_u32_e32 0, v2
	s_cbranch_execz .LBB3_240
; %bb.239:
	s_bcnt1_i32_b32 s16, s16
	v_mov_b32_e32 v2, s16
	s_waitcnt vmcnt(0)
	global_atomic_add_x2 v[0:1], v[2:3], off offset:8
.LBB3_240:
	s_or_b32 exec_lo, exec_lo, s11
	s_waitcnt vmcnt(0)
	global_load_dwordx2 v[2:3], v[0:1], off offset:16
	s_waitcnt vmcnt(0)
	v_cmp_eq_u64_e32 vcc_lo, 0, v[2:3]
	s_cbranch_vccnz .LBB3_242
; %bb.241:
	global_load_dword v0, v[0:1], off offset:24
	v_mov_b32_e32 v1, 0
	s_waitcnt vmcnt(0)
	v_and_b32_e32 v9, 0x7fffff, v0
	s_waitcnt_vscnt null, 0x0
	global_store_dwordx2 v[2:3], v[0:1], off
	v_readfirstlane_b32 m0, v9
	s_sendmsg sendmsg(MSG_INTERRUPT)
.LBB3_242:
	s_or_b32 exec_lo, exec_lo, s10
	s_branch .LBB3_246
	.p2align	6
.LBB3_243:                              ;   in Loop: Header=BB3_246 Depth=1
	s_or_b32 exec_lo, exec_lo, s10
	v_readfirstlane_b32 s10, v0
	s_cmp_eq_u32 s10, 0
	s_cbranch_scc1 .LBB3_245
; %bb.244:                              ;   in Loop: Header=BB3_246 Depth=1
	s_sleep 1
	s_cbranch_execnz .LBB3_246
	s_branch .LBB3_248
	.p2align	6
.LBB3_245:
	s_branch .LBB3_248
.LBB3_246:                              ; =>This Inner Loop Header: Depth=1
	v_mov_b32_e32 v0, 1
	s_and_saveexec_b32 s10, s4
	s_cbranch_execz .LBB3_243
; %bb.247:                              ;   in Loop: Header=BB3_246 Depth=1
	global_load_dword v0, v[6:7], off offset:20 glc dlc
	s_waitcnt vmcnt(0)
	buffer_gl1_inv
	buffer_gl0_inv
	v_and_b32_e32 v0, 1, v0
	s_branch .LBB3_243
.LBB3_248:
	s_and_saveexec_b32 s10, s4
	s_cbranch_execz .LBB3_252
; %bb.249:
	v_mov_b32_e32 v9, 0
	s_clause 0x2
	global_load_dwordx2 v[2:3], v9, s[38:39] offset:40
	global_load_dwordx2 v[10:11], v9, s[38:39] offset:24 glc dlc
	global_load_dwordx2 v[6:7], v9, s[38:39]
	s_waitcnt vmcnt(2)
	v_add_co_u32 v12, vcc_lo, v2, 1
	v_add_co_ci_u32_e32 v13, vcc_lo, 0, v3, vcc_lo
	v_add_co_u32 v0, vcc_lo, v12, s6
	v_add_co_ci_u32_e32 v1, vcc_lo, s7, v13, vcc_lo
	v_cmp_eq_u64_e32 vcc_lo, 0, v[0:1]
	v_cndmask_b32_e32 v1, v1, v13, vcc_lo
	v_cndmask_b32_e32 v0, v0, v12, vcc_lo
	v_and_b32_e32 v3, v1, v3
	v_and_b32_e32 v2, v0, v2
	v_mul_lo_u32 v3, v3, 24
	v_mul_hi_u32 v12, v2, 24
	v_mul_lo_u32 v2, v2, 24
	v_add_nc_u32_e32 v3, v12, v3
	s_waitcnt vmcnt(0)
	v_add_co_u32 v6, vcc_lo, v6, v2
	v_mov_b32_e32 v2, v10
	v_add_co_ci_u32_e32 v7, vcc_lo, v7, v3, vcc_lo
	v_mov_b32_e32 v3, v11
	global_store_dwordx2 v[6:7], v[10:11], off
	s_waitcnt_vscnt null, 0x0
	global_atomic_cmpswap_x2 v[2:3], v9, v[0:3], s[38:39] offset:24 glc
	s_waitcnt vmcnt(0)
	v_cmp_ne_u64_e32 vcc_lo, v[2:3], v[10:11]
	s_and_b32 exec_lo, exec_lo, vcc_lo
	s_cbranch_execz .LBB3_252
; %bb.250:
	s_mov_b32 s4, 0
.LBB3_251:                              ; =>This Inner Loop Header: Depth=1
	s_sleep 1
	global_store_dwordx2 v[6:7], v[2:3], off
	s_waitcnt_vscnt null, 0x0
	global_atomic_cmpswap_x2 v[10:11], v9, v[0:3], s[38:39] offset:24 glc
	s_waitcnt vmcnt(0)
	v_cmp_eq_u64_e32 vcc_lo, v[10:11], v[2:3]
	v_mov_b32_e32 v2, v10
	v_mov_b32_e32 v3, v11
	s_or_b32 s4, vcc_lo, s4
	s_andn2_b32 exec_lo, exec_lo, s4
	s_cbranch_execnz .LBB3_251
.LBB3_252:
	s_or_b32 exec_lo, exec_lo, s10
.LBB3_253:
	s_or_b32 exec_lo, exec_lo, s5
	v_readfirstlane_b32 s4, v51
	v_mov_b32_e32 v6, 0
	v_mov_b32_e32 v7, 0
	v_cmp_eq_u32_e64 s4, s4, v51
	s_and_saveexec_b32 s5, s4
	s_cbranch_execz .LBB3_259
; %bb.254:
	s_waitcnt vmcnt(0)
	v_mov_b32_e32 v0, 0
	s_mov_b32 s6, exec_lo
	global_load_dwordx2 v[11:12], v0, s[38:39] offset:24 glc dlc
	s_waitcnt vmcnt(0)
	buffer_gl1_inv
	buffer_gl0_inv
	s_clause 0x1
	global_load_dwordx2 v[1:2], v0, s[38:39] offset:40
	global_load_dwordx2 v[6:7], v0, s[38:39]
	s_waitcnt vmcnt(1)
	v_and_b32_e32 v2, v2, v12
	v_and_b32_e32 v1, v1, v11
	v_mul_lo_u32 v2, v2, 24
	v_mul_hi_u32 v3, v1, 24
	v_mul_lo_u32 v1, v1, 24
	v_add_nc_u32_e32 v2, v3, v2
	s_waitcnt vmcnt(0)
	v_add_co_u32 v1, vcc_lo, v6, v1
	v_add_co_ci_u32_e32 v2, vcc_lo, v7, v2, vcc_lo
	global_load_dwordx2 v[9:10], v[1:2], off glc dlc
	s_waitcnt vmcnt(0)
	global_atomic_cmpswap_x2 v[6:7], v0, v[9:12], s[38:39] offset:24 glc
	s_waitcnt vmcnt(0)
	buffer_gl1_inv
	buffer_gl0_inv
	v_cmpx_ne_u64_e64 v[6:7], v[11:12]
	s_cbranch_execz .LBB3_258
; %bb.255:
	s_mov_b32 s7, 0
	.p2align	6
.LBB3_256:                              ; =>This Inner Loop Header: Depth=1
	s_sleep 1
	s_clause 0x1
	global_load_dwordx2 v[1:2], v0, s[38:39] offset:40
	global_load_dwordx2 v[9:10], v0, s[38:39]
	v_mov_b32_e32 v12, v7
	v_mov_b32_e32 v11, v6
	s_waitcnt vmcnt(1)
	v_and_b32_e32 v1, v1, v11
	v_and_b32_e32 v2, v2, v12
	s_waitcnt vmcnt(0)
	v_mad_u64_u32 v[6:7], null, v1, 24, v[9:10]
	v_mov_b32_e32 v1, v7
	v_mad_u64_u32 v[1:2], null, v2, 24, v[1:2]
	v_mov_b32_e32 v7, v1
	global_load_dwordx2 v[9:10], v[6:7], off glc dlc
	s_waitcnt vmcnt(0)
	global_atomic_cmpswap_x2 v[6:7], v0, v[9:12], s[38:39] offset:24 glc
	s_waitcnt vmcnt(0)
	buffer_gl1_inv
	buffer_gl0_inv
	v_cmp_eq_u64_e32 vcc_lo, v[6:7], v[11:12]
	s_or_b32 s7, vcc_lo, s7
	s_andn2_b32 exec_lo, exec_lo, s7
	s_cbranch_execnz .LBB3_256
; %bb.257:
	s_or_b32 exec_lo, exec_lo, s7
.LBB3_258:
	s_or_b32 exec_lo, exec_lo, s6
.LBB3_259:
	s_or_b32 exec_lo, exec_lo, s5
	s_waitcnt vmcnt(0)
	v_mov_b32_e32 v10, 0
	v_readfirstlane_b32 s6, v6
	v_readfirstlane_b32 s7, v7
	s_mov_b32 s5, exec_lo
	s_clause 0x1
	global_load_dwordx2 v[11:12], v10, s[38:39] offset:40
	global_load_dwordx4 v[0:3], v10, s[38:39]
	s_waitcnt vmcnt(1)
	v_readfirstlane_b32 s10, v11
	v_readfirstlane_b32 s11, v12
	s_and_b64 s[10:11], s[6:7], s[10:11]
	s_mul_i32 s16, s11, 24
	s_mul_hi_u32 s17, s10, 24
	s_mul_i32 s18, s10, 24
	s_add_i32 s17, s17, s16
	s_waitcnt vmcnt(0)
	v_add_co_u32 v6, vcc_lo, v0, s18
	v_add_co_ci_u32_e32 v7, vcc_lo, s17, v1, vcc_lo
	s_and_saveexec_b32 s16, s4
	s_cbranch_execz .LBB3_261
; %bb.260:
	v_mov_b32_e32 v9, s5
	v_mov_b32_e32 v11, 2
	v_mov_b32_e32 v12, 1
	global_store_dwordx4 v[6:7], v[9:12], off offset:8
.LBB3_261:
	s_or_b32 exec_lo, exec_lo, s16
	s_lshl_b64 s[10:11], s[10:11], 12
	s_mov_b32 s16, 0
	v_add_co_u32 v2, vcc_lo, v2, s10
	v_add_co_ci_u32_e32 v3, vcc_lo, s11, v3, vcc_lo
	s_mov_b32 s17, s16
	v_add_co_u32 v13, vcc_lo, v2, v50
	s_mov_b32 s18, s16
	s_mov_b32 s19, s16
	v_mov_b32_e32 v9, 33
	v_mov_b32_e32 v11, v10
	;; [unrolled: 1-line block ×3, first 2 shown]
	v_readfirstlane_b32 s10, v2
	v_readfirstlane_b32 s11, v3
	v_mov_b32_e32 v15, s16
	v_add_co_ci_u32_e32 v14, vcc_lo, 0, v3, vcc_lo
	v_mov_b32_e32 v16, s17
	v_mov_b32_e32 v17, s18
	;; [unrolled: 1-line block ×3, first 2 shown]
	global_store_dwordx4 v50, v[9:12], s[10:11]
	global_store_dwordx4 v50, v[15:18], s[10:11] offset:16
	global_store_dwordx4 v50, v[15:18], s[10:11] offset:32
	;; [unrolled: 1-line block ×3, first 2 shown]
	s_and_saveexec_b32 s5, s4
	s_cbranch_execz .LBB3_269
; %bb.262:
	v_mov_b32_e32 v11, 0
	v_mov_b32_e32 v15, s6
	v_mov_b32_e32 v16, s7
	s_clause 0x1
	global_load_dwordx2 v[17:18], v11, s[38:39] offset:32 glc dlc
	global_load_dwordx2 v[2:3], v11, s[38:39] offset:40
	s_waitcnt vmcnt(0)
	v_readfirstlane_b32 s10, v2
	v_readfirstlane_b32 s11, v3
	s_and_b64 s[10:11], s[10:11], s[6:7]
	s_mul_i32 s11, s11, 24
	s_mul_hi_u32 s16, s10, 24
	s_mul_i32 s10, s10, 24
	s_add_i32 s16, s16, s11
	v_add_co_u32 v9, vcc_lo, v0, s10
	v_add_co_ci_u32_e32 v10, vcc_lo, s16, v1, vcc_lo
	s_mov_b32 s10, exec_lo
	global_store_dwordx2 v[9:10], v[17:18], off
	s_waitcnt_vscnt null, 0x0
	global_atomic_cmpswap_x2 v[2:3], v11, v[15:18], s[38:39] offset:32 glc
	s_waitcnt vmcnt(0)
	v_cmpx_ne_u64_e64 v[2:3], v[17:18]
	s_cbranch_execz .LBB3_265
; %bb.263:
	s_mov_b32 s11, 0
.LBB3_264:                              ; =>This Inner Loop Header: Depth=1
	v_mov_b32_e32 v0, s6
	v_mov_b32_e32 v1, s7
	s_sleep 1
	global_store_dwordx2 v[9:10], v[2:3], off
	s_waitcnt_vscnt null, 0x0
	global_atomic_cmpswap_x2 v[0:1], v11, v[0:3], s[38:39] offset:32 glc
	s_waitcnt vmcnt(0)
	v_cmp_eq_u64_e32 vcc_lo, v[0:1], v[2:3]
	v_mov_b32_e32 v3, v1
	v_mov_b32_e32 v2, v0
	s_or_b32 s11, vcc_lo, s11
	s_andn2_b32 exec_lo, exec_lo, s11
	s_cbranch_execnz .LBB3_264
.LBB3_265:
	s_or_b32 exec_lo, exec_lo, s10
	v_mov_b32_e32 v3, 0
	s_mov_b32 s11, exec_lo
	s_mov_b32 s10, exec_lo
	v_mbcnt_lo_u32_b32 v2, s11, 0
	global_load_dwordx2 v[0:1], v3, s[38:39] offset:16
	v_cmpx_eq_u32_e32 0, v2
	s_cbranch_execz .LBB3_267
; %bb.266:
	s_bcnt1_i32_b32 s11, s11
	v_mov_b32_e32 v2, s11
	s_waitcnt vmcnt(0)
	global_atomic_add_x2 v[0:1], v[2:3], off offset:8
.LBB3_267:
	s_or_b32 exec_lo, exec_lo, s10
	s_waitcnt vmcnt(0)
	global_load_dwordx2 v[2:3], v[0:1], off offset:16
	s_waitcnt vmcnt(0)
	v_cmp_eq_u64_e32 vcc_lo, 0, v[2:3]
	s_cbranch_vccnz .LBB3_269
; %bb.268:
	global_load_dword v0, v[0:1], off offset:24
	v_mov_b32_e32 v1, 0
	s_waitcnt vmcnt(0)
	v_and_b32_e32 v9, 0x7fffff, v0
	s_waitcnt_vscnt null, 0x0
	global_store_dwordx2 v[2:3], v[0:1], off
	v_readfirstlane_b32 m0, v9
	s_sendmsg sendmsg(MSG_INTERRUPT)
.LBB3_269:
	s_or_b32 exec_lo, exec_lo, s5
	s_branch .LBB3_273
	.p2align	6
.LBB3_270:                              ;   in Loop: Header=BB3_273 Depth=1
	s_or_b32 exec_lo, exec_lo, s5
	v_readfirstlane_b32 s5, v0
	s_cmp_eq_u32 s5, 0
	s_cbranch_scc1 .LBB3_272
; %bb.271:                              ;   in Loop: Header=BB3_273 Depth=1
	s_sleep 1
	s_cbranch_execnz .LBB3_273
	s_branch .LBB3_275
	.p2align	6
.LBB3_272:
	s_branch .LBB3_275
.LBB3_273:                              ; =>This Inner Loop Header: Depth=1
	v_mov_b32_e32 v0, 1
	s_and_saveexec_b32 s5, s4
	s_cbranch_execz .LBB3_270
; %bb.274:                              ;   in Loop: Header=BB3_273 Depth=1
	global_load_dword v0, v[6:7], off offset:20 glc dlc
	s_waitcnt vmcnt(0)
	buffer_gl1_inv
	buffer_gl0_inv
	v_and_b32_e32 v0, 1, v0
	s_branch .LBB3_270
.LBB3_275:
	global_load_dwordx2 v[0:1], v[13:14], off
	s_and_saveexec_b32 s5, s4
	s_cbranch_execz .LBB3_279
; %bb.276:
	v_mov_b32_e32 v6, 0
	s_clause 0x2
	global_load_dwordx2 v[2:3], v6, s[38:39] offset:40
	global_load_dwordx2 v[13:14], v6, s[38:39] offset:24 glc dlc
	global_load_dwordx2 v[11:12], v6, s[38:39]
	s_waitcnt vmcnt(2)
	v_add_co_u32 v7, vcc_lo, v2, 1
	v_add_co_ci_u32_e32 v15, vcc_lo, 0, v3, vcc_lo
	v_add_co_u32 v9, vcc_lo, v7, s6
	v_add_co_ci_u32_e32 v10, vcc_lo, s7, v15, vcc_lo
	v_cmp_eq_u64_e32 vcc_lo, 0, v[9:10]
	v_cndmask_b32_e32 v10, v10, v15, vcc_lo
	v_cndmask_b32_e32 v9, v9, v7, vcc_lo
	v_and_b32_e32 v3, v10, v3
	v_and_b32_e32 v2, v9, v2
	v_mul_lo_u32 v3, v3, 24
	v_mul_hi_u32 v7, v2, 24
	v_mul_lo_u32 v2, v2, 24
	v_add_nc_u32_e32 v3, v7, v3
	s_waitcnt vmcnt(0)
	v_add_co_u32 v2, vcc_lo, v11, v2
	v_mov_b32_e32 v11, v13
	v_add_co_ci_u32_e32 v3, vcc_lo, v12, v3, vcc_lo
	v_mov_b32_e32 v12, v14
	global_store_dwordx2 v[2:3], v[13:14], off
	s_waitcnt_vscnt null, 0x0
	global_atomic_cmpswap_x2 v[11:12], v6, v[9:12], s[38:39] offset:24 glc
	s_waitcnt vmcnt(0)
	v_cmp_ne_u64_e32 vcc_lo, v[11:12], v[13:14]
	s_and_b32 exec_lo, exec_lo, vcc_lo
	s_cbranch_execz .LBB3_279
; %bb.277:
	s_mov_b32 s4, 0
.LBB3_278:                              ; =>This Inner Loop Header: Depth=1
	s_sleep 1
	global_store_dwordx2 v[2:3], v[11:12], off
	s_waitcnt_vscnt null, 0x0
	global_atomic_cmpswap_x2 v[13:14], v6, v[9:12], s[38:39] offset:24 glc
	s_waitcnt vmcnt(0)
	v_cmp_eq_u64_e32 vcc_lo, v[13:14], v[11:12]
	v_mov_b32_e32 v11, v13
	v_mov_b32_e32 v12, v14
	s_or_b32 s4, vcc_lo, s4
	s_andn2_b32 exec_lo, exec_lo, s4
	s_cbranch_execnz .LBB3_278
.LBB3_279:
	s_or_b32 exec_lo, exec_lo, s5
	s_getpc_b64 s[6:7]
	s_add_u32 s6, s6, .str.9@rel32@lo+4
	s_addc_u32 s7, s7, .str.9@rel32@hi+12
	s_cmp_lg_u64 s[6:7], 0
	s_cselect_b32 s42, -1, 0
	s_and_b32 vcc_lo, exec_lo, s42
	s_cbranch_vccz .LBB3_358
; %bb.280:
	s_waitcnt vmcnt(0)
	v_and_b32_e32 v38, 2, v0
	v_mov_b32_e32 v13, 0
	v_and_b32_e32 v9, -3, v0
	v_mov_b32_e32 v10, v1
	v_mov_b32_e32 v14, 2
	;; [unrolled: 1-line block ×3, first 2 shown]
	s_mov_b64 s[10:11], 3
	s_branch .LBB3_282
.LBB3_281:                              ;   in Loop: Header=BB3_282 Depth=1
	s_or_b32 exec_lo, exec_lo, s5
	s_sub_u32 s10, s10, s16
	s_subb_u32 s11, s11, s17
	s_add_u32 s6, s6, s16
	s_addc_u32 s7, s7, s17
	s_cmp_lg_u64 s[10:11], 0
	s_cbranch_scc0 .LBB3_357
.LBB3_282:                              ; =>This Loop Header: Depth=1
                                        ;     Child Loop BB3_291 Depth 2
                                        ;     Child Loop BB3_287 Depth 2
                                        ;     Child Loop BB3_299 Depth 2
                                        ;     Child Loop BB3_306 Depth 2
                                        ;     Child Loop BB3_313 Depth 2
                                        ;     Child Loop BB3_320 Depth 2
                                        ;     Child Loop BB3_327 Depth 2
                                        ;     Child Loop BB3_334 Depth 2
                                        ;     Child Loop BB3_342 Depth 2
                                        ;     Child Loop BB3_351 Depth 2
                                        ;     Child Loop BB3_356 Depth 2
	v_cmp_lt_u64_e64 s4, s[10:11], 56
	v_cmp_gt_u64_e64 s5, s[10:11], 7
                                        ; implicit-def: $vgpr18_vgpr19
                                        ; implicit-def: $sgpr22
	s_and_b32 s4, s4, exec_lo
	s_cselect_b32 s17, s11, 0
	s_cselect_b32 s16, s10, 56
	s_and_b32 vcc_lo, exec_lo, s5
	s_mov_b32 s4, -1
	s_cbranch_vccz .LBB3_289
; %bb.283:                              ;   in Loop: Header=BB3_282 Depth=1
	s_andn2_b32 vcc_lo, exec_lo, s4
	s_mov_b64 s[4:5], s[6:7]
	s_cbranch_vccz .LBB3_293
.LBB3_284:                              ;   in Loop: Header=BB3_282 Depth=1
	s_cmp_gt_u32 s22, 7
	s_cbranch_scc1 .LBB3_294
.LBB3_285:                              ;   in Loop: Header=BB3_282 Depth=1
	v_mov_b32_e32 v20, 0
	v_mov_b32_e32 v21, 0
	s_cmp_eq_u32 s22, 0
	s_cbranch_scc1 .LBB3_288
; %bb.286:                              ;   in Loop: Header=BB3_282 Depth=1
	s_mov_b64 s[18:19], 0
	s_mov_b64 s[20:21], 0
.LBB3_287:                              ;   Parent Loop BB3_282 Depth=1
                                        ; =>  This Inner Loop Header: Depth=2
	s_add_u32 s24, s4, s20
	s_addc_u32 s25, s5, s21
	s_add_u32 s20, s20, 1
	global_load_ubyte v2, v13, s[24:25]
	s_addc_u32 s21, s21, 0
	s_waitcnt vmcnt(0)
	v_and_b32_e32 v12, 0xffff, v2
	v_lshlrev_b64 v[2:3], s18, v[12:13]
	s_add_u32 s18, s18, 8
	s_addc_u32 s19, s19, 0
	s_cmp_lg_u32 s22, s20
	v_or_b32_e32 v20, v2, v20
	v_or_b32_e32 v21, v3, v21
	s_cbranch_scc1 .LBB3_287
.LBB3_288:                              ;   in Loop: Header=BB3_282 Depth=1
	s_mov_b32 s23, 0
	s_cbranch_execz .LBB3_295
	s_branch .LBB3_296
.LBB3_289:                              ;   in Loop: Header=BB3_282 Depth=1
	v_mov_b32_e32 v18, 0
	v_mov_b32_e32 v19, 0
	s_cmp_eq_u64 s[10:11], 0
	s_mov_b64 s[4:5], 0
	s_cbranch_scc1 .LBB3_292
; %bb.290:                              ;   in Loop: Header=BB3_282 Depth=1
	v_mov_b32_e32 v18, 0
	v_mov_b32_e32 v19, 0
	s_lshl_b64 s[18:19], s[16:17], 3
	s_mov_b64 s[20:21], s[6:7]
.LBB3_291:                              ;   Parent Loop BB3_282 Depth=1
                                        ; =>  This Inner Loop Header: Depth=2
	global_load_ubyte v2, v13, s[20:21]
	s_waitcnt vmcnt(0)
	v_and_b32_e32 v12, 0xffff, v2
	v_lshlrev_b64 v[2:3], s4, v[12:13]
	s_add_u32 s4, s4, 8
	s_addc_u32 s5, s5, 0
	s_add_u32 s20, s20, 1
	s_addc_u32 s21, s21, 0
	s_cmp_lg_u32 s18, s4
	v_or_b32_e32 v18, v2, v18
	v_or_b32_e32 v19, v3, v19
	s_cbranch_scc1 .LBB3_291
.LBB3_292:                              ;   in Loop: Header=BB3_282 Depth=1
	s_mov_b32 s22, 0
	s_mov_b64 s[4:5], s[6:7]
	s_cbranch_execnz .LBB3_284
.LBB3_293:                              ;   in Loop: Header=BB3_282 Depth=1
	global_load_dwordx2 v[18:19], v13, s[6:7]
	s_add_i32 s22, s16, -8
	s_add_u32 s4, s6, 8
	s_addc_u32 s5, s7, 0
	s_cmp_gt_u32 s22, 7
	s_cbranch_scc0 .LBB3_285
.LBB3_294:                              ;   in Loop: Header=BB3_282 Depth=1
                                        ; implicit-def: $vgpr20_vgpr21
                                        ; implicit-def: $sgpr23
.LBB3_295:                              ;   in Loop: Header=BB3_282 Depth=1
	global_load_dwordx2 v[20:21], v13, s[4:5]
	s_add_i32 s23, s22, -8
	s_add_u32 s4, s4, 8
	s_addc_u32 s5, s5, 0
.LBB3_296:                              ;   in Loop: Header=BB3_282 Depth=1
	s_cmp_gt_u32 s23, 7
	s_cbranch_scc1 .LBB3_301
; %bb.297:                              ;   in Loop: Header=BB3_282 Depth=1
	v_mov_b32_e32 v22, 0
	v_mov_b32_e32 v23, 0
	s_cmp_eq_u32 s23, 0
	s_cbranch_scc1 .LBB3_300
; %bb.298:                              ;   in Loop: Header=BB3_282 Depth=1
	s_mov_b64 s[18:19], 0
	s_mov_b64 s[20:21], 0
.LBB3_299:                              ;   Parent Loop BB3_282 Depth=1
                                        ; =>  This Inner Loop Header: Depth=2
	s_add_u32 s24, s4, s20
	s_addc_u32 s25, s5, s21
	s_add_u32 s20, s20, 1
	global_load_ubyte v2, v13, s[24:25]
	s_addc_u32 s21, s21, 0
	s_waitcnt vmcnt(0)
	v_and_b32_e32 v12, 0xffff, v2
	v_lshlrev_b64 v[2:3], s18, v[12:13]
	s_add_u32 s18, s18, 8
	s_addc_u32 s19, s19, 0
	s_cmp_lg_u32 s23, s20
	v_or_b32_e32 v22, v2, v22
	v_or_b32_e32 v23, v3, v23
	s_cbranch_scc1 .LBB3_299
.LBB3_300:                              ;   in Loop: Header=BB3_282 Depth=1
	s_mov_b32 s22, 0
	s_cbranch_execz .LBB3_302
	s_branch .LBB3_303
.LBB3_301:                              ;   in Loop: Header=BB3_282 Depth=1
                                        ; implicit-def: $sgpr22
.LBB3_302:                              ;   in Loop: Header=BB3_282 Depth=1
	global_load_dwordx2 v[22:23], v13, s[4:5]
	s_add_i32 s22, s23, -8
	s_add_u32 s4, s4, 8
	s_addc_u32 s5, s5, 0
.LBB3_303:                              ;   in Loop: Header=BB3_282 Depth=1
	s_cmp_gt_u32 s22, 7
	s_cbranch_scc1 .LBB3_308
; %bb.304:                              ;   in Loop: Header=BB3_282 Depth=1
	v_mov_b32_e32 v24, 0
	v_mov_b32_e32 v25, 0
	s_cmp_eq_u32 s22, 0
	s_cbranch_scc1 .LBB3_307
; %bb.305:                              ;   in Loop: Header=BB3_282 Depth=1
	s_mov_b64 s[18:19], 0
	s_mov_b64 s[20:21], 0
.LBB3_306:                              ;   Parent Loop BB3_282 Depth=1
                                        ; =>  This Inner Loop Header: Depth=2
	s_add_u32 s24, s4, s20
	s_addc_u32 s25, s5, s21
	s_add_u32 s20, s20, 1
	global_load_ubyte v2, v13, s[24:25]
	s_addc_u32 s21, s21, 0
	s_waitcnt vmcnt(0)
	v_and_b32_e32 v12, 0xffff, v2
	v_lshlrev_b64 v[2:3], s18, v[12:13]
	s_add_u32 s18, s18, 8
	s_addc_u32 s19, s19, 0
	s_cmp_lg_u32 s22, s20
	v_or_b32_e32 v24, v2, v24
	v_or_b32_e32 v25, v3, v25
	s_cbranch_scc1 .LBB3_306
.LBB3_307:                              ;   in Loop: Header=BB3_282 Depth=1
	s_mov_b32 s23, 0
	s_cbranch_execz .LBB3_309
	s_branch .LBB3_310
.LBB3_308:                              ;   in Loop: Header=BB3_282 Depth=1
                                        ; implicit-def: $vgpr24_vgpr25
                                        ; implicit-def: $sgpr23
.LBB3_309:                              ;   in Loop: Header=BB3_282 Depth=1
	global_load_dwordx2 v[24:25], v13, s[4:5]
	s_add_i32 s23, s22, -8
	s_add_u32 s4, s4, 8
	s_addc_u32 s5, s5, 0
.LBB3_310:                              ;   in Loop: Header=BB3_282 Depth=1
	s_cmp_gt_u32 s23, 7
	s_cbranch_scc1 .LBB3_315
; %bb.311:                              ;   in Loop: Header=BB3_282 Depth=1
	v_mov_b32_e32 v26, 0
	v_mov_b32_e32 v27, 0
	s_cmp_eq_u32 s23, 0
	s_cbranch_scc1 .LBB3_314
; %bb.312:                              ;   in Loop: Header=BB3_282 Depth=1
	s_mov_b64 s[18:19], 0
	s_mov_b64 s[20:21], 0
.LBB3_313:                              ;   Parent Loop BB3_282 Depth=1
                                        ; =>  This Inner Loop Header: Depth=2
	s_add_u32 s24, s4, s20
	s_addc_u32 s25, s5, s21
	s_add_u32 s20, s20, 1
	global_load_ubyte v2, v13, s[24:25]
	s_addc_u32 s21, s21, 0
	s_waitcnt vmcnt(0)
	v_and_b32_e32 v12, 0xffff, v2
	v_lshlrev_b64 v[2:3], s18, v[12:13]
	s_add_u32 s18, s18, 8
	s_addc_u32 s19, s19, 0
	s_cmp_lg_u32 s23, s20
	v_or_b32_e32 v26, v2, v26
	v_or_b32_e32 v27, v3, v27
	s_cbranch_scc1 .LBB3_313
.LBB3_314:                              ;   in Loop: Header=BB3_282 Depth=1
	s_mov_b32 s22, 0
	s_cbranch_execz .LBB3_316
	s_branch .LBB3_317
.LBB3_315:                              ;   in Loop: Header=BB3_282 Depth=1
                                        ; implicit-def: $sgpr22
.LBB3_316:                              ;   in Loop: Header=BB3_282 Depth=1
	global_load_dwordx2 v[26:27], v13, s[4:5]
	s_add_i32 s22, s23, -8
	s_add_u32 s4, s4, 8
	s_addc_u32 s5, s5, 0
.LBB3_317:                              ;   in Loop: Header=BB3_282 Depth=1
	s_cmp_gt_u32 s22, 7
	s_cbranch_scc1 .LBB3_322
; %bb.318:                              ;   in Loop: Header=BB3_282 Depth=1
	v_mov_b32_e32 v28, 0
	v_mov_b32_e32 v29, 0
	s_cmp_eq_u32 s22, 0
	s_cbranch_scc1 .LBB3_321
; %bb.319:                              ;   in Loop: Header=BB3_282 Depth=1
	s_mov_b64 s[18:19], 0
	s_mov_b64 s[20:21], 0
.LBB3_320:                              ;   Parent Loop BB3_282 Depth=1
                                        ; =>  This Inner Loop Header: Depth=2
	s_add_u32 s24, s4, s20
	s_addc_u32 s25, s5, s21
	s_add_u32 s20, s20, 1
	global_load_ubyte v2, v13, s[24:25]
	s_addc_u32 s21, s21, 0
	s_waitcnt vmcnt(0)
	v_and_b32_e32 v12, 0xffff, v2
	v_lshlrev_b64 v[2:3], s18, v[12:13]
	s_add_u32 s18, s18, 8
	s_addc_u32 s19, s19, 0
	s_cmp_lg_u32 s22, s20
	v_or_b32_e32 v28, v2, v28
	v_or_b32_e32 v29, v3, v29
	s_cbranch_scc1 .LBB3_320
.LBB3_321:                              ;   in Loop: Header=BB3_282 Depth=1
	s_mov_b32 s23, 0
	s_cbranch_execz .LBB3_323
	s_branch .LBB3_324
.LBB3_322:                              ;   in Loop: Header=BB3_282 Depth=1
                                        ; implicit-def: $vgpr28_vgpr29
                                        ; implicit-def: $sgpr23
.LBB3_323:                              ;   in Loop: Header=BB3_282 Depth=1
	global_load_dwordx2 v[28:29], v13, s[4:5]
	s_add_i32 s23, s22, -8
	s_add_u32 s4, s4, 8
	s_addc_u32 s5, s5, 0
.LBB3_324:                              ;   in Loop: Header=BB3_282 Depth=1
	s_cmp_gt_u32 s23, 7
	s_cbranch_scc1 .LBB3_329
; %bb.325:                              ;   in Loop: Header=BB3_282 Depth=1
	v_mov_b32_e32 v30, 0
	v_mov_b32_e32 v31, 0
	s_cmp_eq_u32 s23, 0
	s_cbranch_scc1 .LBB3_328
; %bb.326:                              ;   in Loop: Header=BB3_282 Depth=1
	s_mov_b64 s[18:19], 0
	s_mov_b64 s[20:21], s[4:5]
.LBB3_327:                              ;   Parent Loop BB3_282 Depth=1
                                        ; =>  This Inner Loop Header: Depth=2
	global_load_ubyte v2, v13, s[20:21]
	s_add_i32 s23, s23, -1
	s_waitcnt vmcnt(0)
	v_and_b32_e32 v12, 0xffff, v2
	v_lshlrev_b64 v[2:3], s18, v[12:13]
	s_add_u32 s18, s18, 8
	s_addc_u32 s19, s19, 0
	s_add_u32 s20, s20, 1
	s_addc_u32 s21, s21, 0
	s_cmp_lg_u32 s23, 0
	v_or_b32_e32 v30, v2, v30
	v_or_b32_e32 v31, v3, v31
	s_cbranch_scc1 .LBB3_327
.LBB3_328:                              ;   in Loop: Header=BB3_282 Depth=1
	s_cbranch_execz .LBB3_330
	s_branch .LBB3_331
.LBB3_329:                              ;   in Loop: Header=BB3_282 Depth=1
.LBB3_330:                              ;   in Loop: Header=BB3_282 Depth=1
	global_load_dwordx2 v[30:31], v13, s[4:5]
.LBB3_331:                              ;   in Loop: Header=BB3_282 Depth=1
	v_readfirstlane_b32 s4, v51
	v_mov_b32_e32 v2, 0
	v_mov_b32_e32 v3, 0
	v_cmp_eq_u32_e64 s4, s4, v51
	s_and_saveexec_b32 s5, s4
	s_cbranch_execz .LBB3_337
; %bb.332:                              ;   in Loop: Header=BB3_282 Depth=1
	global_load_dwordx2 v[34:35], v13, s[38:39] offset:24 glc dlc
	s_waitcnt vmcnt(0)
	buffer_gl1_inv
	buffer_gl0_inv
	s_clause 0x1
	global_load_dwordx2 v[2:3], v13, s[38:39] offset:40
	global_load_dwordx2 v[6:7], v13, s[38:39]
	s_mov_b32 s18, exec_lo
	s_waitcnt vmcnt(1)
	v_and_b32_e32 v3, v3, v35
	v_and_b32_e32 v2, v2, v34
	v_mul_lo_u32 v3, v3, 24
	v_mul_hi_u32 v11, v2, 24
	v_mul_lo_u32 v2, v2, 24
	v_add_nc_u32_e32 v3, v11, v3
	s_waitcnt vmcnt(0)
	v_add_co_u32 v2, vcc_lo, v6, v2
	v_add_co_ci_u32_e32 v3, vcc_lo, v7, v3, vcc_lo
	global_load_dwordx2 v[32:33], v[2:3], off glc dlc
	s_waitcnt vmcnt(0)
	global_atomic_cmpswap_x2 v[2:3], v13, v[32:35], s[38:39] offset:24 glc
	s_waitcnt vmcnt(0)
	buffer_gl1_inv
	buffer_gl0_inv
	v_cmpx_ne_u64_e64 v[2:3], v[34:35]
	s_cbranch_execz .LBB3_336
; %bb.333:                              ;   in Loop: Header=BB3_282 Depth=1
	s_mov_b32 s19, 0
	.p2align	6
.LBB3_334:                              ;   Parent Loop BB3_282 Depth=1
                                        ; =>  This Inner Loop Header: Depth=2
	s_sleep 1
	s_clause 0x1
	global_load_dwordx2 v[6:7], v13, s[38:39] offset:40
	global_load_dwordx2 v[11:12], v13, s[38:39]
	v_mov_b32_e32 v35, v3
	v_mov_b32_e32 v34, v2
	s_waitcnt vmcnt(1)
	v_and_b32_e32 v2, v6, v34
	v_and_b32_e32 v6, v7, v35
	s_waitcnt vmcnt(0)
	v_mad_u64_u32 v[2:3], null, v2, 24, v[11:12]
	v_mad_u64_u32 v[6:7], null, v6, 24, v[3:4]
	v_mov_b32_e32 v3, v6
	global_load_dwordx2 v[32:33], v[2:3], off glc dlc
	s_waitcnt vmcnt(0)
	global_atomic_cmpswap_x2 v[2:3], v13, v[32:35], s[38:39] offset:24 glc
	s_waitcnt vmcnt(0)
	buffer_gl1_inv
	buffer_gl0_inv
	v_cmp_eq_u64_e32 vcc_lo, v[2:3], v[34:35]
	s_or_b32 s19, vcc_lo, s19
	s_andn2_b32 exec_lo, exec_lo, s19
	s_cbranch_execnz .LBB3_334
; %bb.335:                              ;   in Loop: Header=BB3_282 Depth=1
	s_or_b32 exec_lo, exec_lo, s19
.LBB3_336:                              ;   in Loop: Header=BB3_282 Depth=1
	s_or_b32 exec_lo, exec_lo, s18
.LBB3_337:                              ;   in Loop: Header=BB3_282 Depth=1
	s_or_b32 exec_lo, exec_lo, s5
	s_clause 0x1
	global_load_dwordx2 v[6:7], v13, s[38:39] offset:40
	global_load_dwordx4 v[32:35], v13, s[38:39]
	v_readfirstlane_b32 s18, v2
	v_readfirstlane_b32 s19, v3
	s_mov_b32 s5, exec_lo
	s_waitcnt vmcnt(1)
	v_readfirstlane_b32 s20, v6
	v_readfirstlane_b32 s21, v7
	s_and_b64 s[20:21], s[18:19], s[20:21]
	s_mul_i32 s22, s21, 24
	s_mul_hi_u32 s23, s20, 24
	s_mul_i32 s24, s20, 24
	s_add_i32 s23, s23, s22
	s_waitcnt vmcnt(0)
	v_add_co_u32 v2, vcc_lo, v32, s24
	v_add_co_ci_u32_e32 v3, vcc_lo, s23, v33, vcc_lo
	s_and_saveexec_b32 s22, s4
	s_cbranch_execz .LBB3_339
; %bb.338:                              ;   in Loop: Header=BB3_282 Depth=1
	v_mov_b32_e32 v12, s5
	global_store_dwordx4 v[2:3], v[12:15], off offset:8
.LBB3_339:                              ;   in Loop: Header=BB3_282 Depth=1
	s_or_b32 exec_lo, exec_lo, s22
	s_lshl_b64 s[20:21], s[20:21], 12
	v_cmp_gt_u64_e64 vcc_lo, s[10:11], 56
	v_or_b32_e32 v6, 0, v10
	v_or_b32_e32 v7, v9, v38
	v_add_co_u32 v34, s5, v34, s20
	v_add_co_ci_u32_e64 v35, s5, s21, v35, s5
	s_lshl_b32 s5, s16, 2
	v_cndmask_b32_e32 v17, v6, v10, vcc_lo
	v_cndmask_b32_e32 v6, v7, v9, vcc_lo
	s_add_i32 s5, s5, 28
	v_readfirstlane_b32 s20, v34
	s_and_b32 s5, s5, 0x1e0
	v_readfirstlane_b32 s21, v35
	v_and_or_b32 v16, 0xffffff1f, v6, s5
	global_store_dwordx4 v50, v[16:19], s[20:21]
	global_store_dwordx4 v50, v[20:23], s[20:21] offset:16
	global_store_dwordx4 v50, v[24:27], s[20:21] offset:32
	;; [unrolled: 1-line block ×3, first 2 shown]
	s_and_saveexec_b32 s5, s4
	s_cbranch_execz .LBB3_347
; %bb.340:                              ;   in Loop: Header=BB3_282 Depth=1
	s_clause 0x1
	global_load_dwordx2 v[18:19], v13, s[38:39] offset:32 glc dlc
	global_load_dwordx2 v[6:7], v13, s[38:39] offset:40
	v_mov_b32_e32 v16, s18
	v_mov_b32_e32 v17, s19
	s_waitcnt vmcnt(0)
	v_readfirstlane_b32 s20, v6
	v_readfirstlane_b32 s21, v7
	s_and_b64 s[20:21], s[20:21], s[18:19]
	s_mul_i32 s21, s21, 24
	s_mul_hi_u32 s22, s20, 24
	s_mul_i32 s20, s20, 24
	s_add_i32 s22, s22, s21
	v_add_co_u32 v6, vcc_lo, v32, s20
	v_add_co_ci_u32_e32 v7, vcc_lo, s22, v33, vcc_lo
	s_mov_b32 s20, exec_lo
	global_store_dwordx2 v[6:7], v[18:19], off
	s_waitcnt_vscnt null, 0x0
	global_atomic_cmpswap_x2 v[11:12], v13, v[16:19], s[38:39] offset:32 glc
	s_waitcnt vmcnt(0)
	v_cmpx_ne_u64_e64 v[11:12], v[18:19]
	s_cbranch_execz .LBB3_343
; %bb.341:                              ;   in Loop: Header=BB3_282 Depth=1
	s_mov_b32 s21, 0
.LBB3_342:                              ;   Parent Loop BB3_282 Depth=1
                                        ; =>  This Inner Loop Header: Depth=2
	v_mov_b32_e32 v9, s18
	v_mov_b32_e32 v10, s19
	s_sleep 1
	global_store_dwordx2 v[6:7], v[11:12], off
	s_waitcnt_vscnt null, 0x0
	global_atomic_cmpswap_x2 v[9:10], v13, v[9:12], s[38:39] offset:32 glc
	s_waitcnt vmcnt(0)
	v_cmp_eq_u64_e32 vcc_lo, v[9:10], v[11:12]
	v_mov_b32_e32 v12, v10
	v_mov_b32_e32 v11, v9
	s_or_b32 s21, vcc_lo, s21
	s_andn2_b32 exec_lo, exec_lo, s21
	s_cbranch_execnz .LBB3_342
.LBB3_343:                              ;   in Loop: Header=BB3_282 Depth=1
	s_or_b32 exec_lo, exec_lo, s20
	global_load_dwordx2 v[6:7], v13, s[38:39] offset:16
	s_mov_b32 s21, exec_lo
	s_mov_b32 s20, exec_lo
	v_mbcnt_lo_u32_b32 v9, s21, 0
	v_cmpx_eq_u32_e32 0, v9
	s_cbranch_execz .LBB3_345
; %bb.344:                              ;   in Loop: Header=BB3_282 Depth=1
	s_bcnt1_i32_b32 s21, s21
	v_mov_b32_e32 v12, s21
	s_waitcnt vmcnt(0)
	global_atomic_add_x2 v[6:7], v[12:13], off offset:8
.LBB3_345:                              ;   in Loop: Header=BB3_282 Depth=1
	s_or_b32 exec_lo, exec_lo, s20
	s_waitcnt vmcnt(0)
	global_load_dwordx2 v[9:10], v[6:7], off offset:16
	s_waitcnt vmcnt(0)
	v_cmp_eq_u64_e32 vcc_lo, 0, v[9:10]
	s_cbranch_vccnz .LBB3_347
; %bb.346:                              ;   in Loop: Header=BB3_282 Depth=1
	global_load_dword v12, v[6:7], off offset:24
	s_waitcnt vmcnt(0)
	v_and_b32_e32 v6, 0x7fffff, v12
	s_waitcnt_vscnt null, 0x0
	global_store_dwordx2 v[9:10], v[12:13], off
	v_readfirstlane_b32 m0, v6
	s_sendmsg sendmsg(MSG_INTERRUPT)
.LBB3_347:                              ;   in Loop: Header=BB3_282 Depth=1
	s_or_b32 exec_lo, exec_lo, s5
	v_add_co_u32 v6, vcc_lo, v34, v50
	v_add_co_ci_u32_e32 v7, vcc_lo, 0, v35, vcc_lo
	s_branch .LBB3_351
	.p2align	6
.LBB3_348:                              ;   in Loop: Header=BB3_351 Depth=2
	s_or_b32 exec_lo, exec_lo, s5
	v_readfirstlane_b32 s5, v9
	s_cmp_eq_u32 s5, 0
	s_cbranch_scc1 .LBB3_350
; %bb.349:                              ;   in Loop: Header=BB3_351 Depth=2
	s_sleep 1
	s_cbranch_execnz .LBB3_351
	s_branch .LBB3_353
	.p2align	6
.LBB3_350:                              ;   in Loop: Header=BB3_282 Depth=1
	s_branch .LBB3_353
.LBB3_351:                              ;   Parent Loop BB3_282 Depth=1
                                        ; =>  This Inner Loop Header: Depth=2
	v_mov_b32_e32 v9, 1
	s_and_saveexec_b32 s5, s4
	s_cbranch_execz .LBB3_348
; %bb.352:                              ;   in Loop: Header=BB3_351 Depth=2
	global_load_dword v9, v[2:3], off offset:20 glc dlc
	s_waitcnt vmcnt(0)
	buffer_gl1_inv
	buffer_gl0_inv
	v_and_b32_e32 v9, 1, v9
	s_branch .LBB3_348
.LBB3_353:                              ;   in Loop: Header=BB3_282 Depth=1
	global_load_dwordx4 v[9:12], v[6:7], off
	s_and_saveexec_b32 s5, s4
	s_cbranch_execz .LBB3_281
; %bb.354:                              ;   in Loop: Header=BB3_282 Depth=1
	s_clause 0x2
	global_load_dwordx2 v[2:3], v13, s[38:39] offset:40
	global_load_dwordx2 v[6:7], v13, s[38:39] offset:24 glc dlc
	global_load_dwordx2 v[11:12], v13, s[38:39]
	s_waitcnt vmcnt(2)
	v_add_co_u32 v18, vcc_lo, v2, 1
	v_add_co_ci_u32_e32 v19, vcc_lo, 0, v3, vcc_lo
	v_add_co_u32 v16, vcc_lo, v18, s18
	v_add_co_ci_u32_e32 v17, vcc_lo, s19, v19, vcc_lo
	v_cmp_eq_u64_e32 vcc_lo, 0, v[16:17]
	v_cndmask_b32_e32 v17, v17, v19, vcc_lo
	v_cndmask_b32_e32 v16, v16, v18, vcc_lo
	s_waitcnt vmcnt(1)
	v_mov_b32_e32 v19, v7
	v_and_b32_e32 v3, v17, v3
	v_and_b32_e32 v2, v16, v2
	v_mul_lo_u32 v3, v3, 24
	v_mul_hi_u32 v18, v2, 24
	v_mul_lo_u32 v2, v2, 24
	v_add_nc_u32_e32 v3, v18, v3
	s_waitcnt vmcnt(0)
	v_add_co_u32 v2, vcc_lo, v11, v2
	v_mov_b32_e32 v18, v6
	v_add_co_ci_u32_e32 v3, vcc_lo, v12, v3, vcc_lo
	global_store_dwordx2 v[2:3], v[6:7], off
	s_waitcnt_vscnt null, 0x0
	global_atomic_cmpswap_x2 v[18:19], v13, v[16:19], s[38:39] offset:24 glc
	s_waitcnt vmcnt(0)
	v_cmp_ne_u64_e32 vcc_lo, v[18:19], v[6:7]
	s_and_b32 exec_lo, exec_lo, vcc_lo
	s_cbranch_execz .LBB3_281
; %bb.355:                              ;   in Loop: Header=BB3_282 Depth=1
	s_mov_b32 s4, 0
.LBB3_356:                              ;   Parent Loop BB3_282 Depth=1
                                        ; =>  This Inner Loop Header: Depth=2
	s_sleep 1
	global_store_dwordx2 v[2:3], v[18:19], off
	s_waitcnt_vscnt null, 0x0
	global_atomic_cmpswap_x2 v[6:7], v13, v[16:19], s[38:39] offset:24 glc
	s_waitcnt vmcnt(0)
	v_cmp_eq_u64_e32 vcc_lo, v[6:7], v[18:19]
	v_mov_b32_e32 v19, v7
	v_mov_b32_e32 v18, v6
	s_or_b32 s4, vcc_lo, s4
	s_andn2_b32 exec_lo, exec_lo, s4
	s_cbranch_execnz .LBB3_356
	s_branch .LBB3_281
.LBB3_357:
	s_branch .LBB3_386
.LBB3_358:
                                        ; implicit-def: $vgpr9_vgpr10
	s_cbranch_execz .LBB3_386
; %bb.359:
	v_readfirstlane_b32 s4, v51
	v_mov_b32_e32 v6, 0
	v_mov_b32_e32 v7, 0
	v_cmp_eq_u32_e64 s4, s4, v51
	s_and_saveexec_b32 s5, s4
	s_cbranch_execz .LBB3_365
; %bb.360:
	v_mov_b32_e32 v2, 0
	s_mov_b32 s6, exec_lo
	global_load_dwordx2 v[11:12], v2, s[38:39] offset:24 glc dlc
	s_waitcnt vmcnt(0)
	buffer_gl1_inv
	buffer_gl0_inv
	s_clause 0x1
	global_load_dwordx2 v[6:7], v2, s[38:39] offset:40
	global_load_dwordx2 v[9:10], v2, s[38:39]
	s_waitcnt vmcnt(1)
	v_and_b32_e32 v3, v7, v12
	v_and_b32_e32 v6, v6, v11
	v_mul_lo_u32 v3, v3, 24
	v_mul_hi_u32 v7, v6, 24
	v_mul_lo_u32 v6, v6, 24
	v_add_nc_u32_e32 v3, v7, v3
	s_waitcnt vmcnt(0)
	v_add_co_u32 v6, vcc_lo, v9, v6
	v_add_co_ci_u32_e32 v7, vcc_lo, v10, v3, vcc_lo
	global_load_dwordx2 v[9:10], v[6:7], off glc dlc
	s_waitcnt vmcnt(0)
	global_atomic_cmpswap_x2 v[6:7], v2, v[9:12], s[38:39] offset:24 glc
	s_waitcnt vmcnt(0)
	buffer_gl1_inv
	buffer_gl0_inv
	v_cmpx_ne_u64_e64 v[6:7], v[11:12]
	s_cbranch_execz .LBB3_364
; %bb.361:
	s_mov_b32 s7, 0
	.p2align	6
.LBB3_362:                              ; =>This Inner Loop Header: Depth=1
	s_sleep 1
	s_clause 0x1
	global_load_dwordx2 v[9:10], v2, s[38:39] offset:40
	global_load_dwordx2 v[13:14], v2, s[38:39]
	v_mov_b32_e32 v12, v7
	v_mov_b32_e32 v11, v6
	s_waitcnt vmcnt(1)
	v_and_b32_e32 v3, v9, v11
	v_and_b32_e32 v9, v10, v12
	s_waitcnt vmcnt(0)
	v_mad_u64_u32 v[6:7], null, v3, 24, v[13:14]
	v_mov_b32_e32 v3, v7
	v_mad_u64_u32 v[9:10], null, v9, 24, v[3:4]
	v_mov_b32_e32 v7, v9
	global_load_dwordx2 v[9:10], v[6:7], off glc dlc
	s_waitcnt vmcnt(0)
	global_atomic_cmpswap_x2 v[6:7], v2, v[9:12], s[38:39] offset:24 glc
	s_waitcnt vmcnt(0)
	buffer_gl1_inv
	buffer_gl0_inv
	v_cmp_eq_u64_e32 vcc_lo, v[6:7], v[11:12]
	s_or_b32 s7, vcc_lo, s7
	s_andn2_b32 exec_lo, exec_lo, s7
	s_cbranch_execnz .LBB3_362
; %bb.363:
	s_or_b32 exec_lo, exec_lo, s7
.LBB3_364:
	s_or_b32 exec_lo, exec_lo, s6
.LBB3_365:
	s_or_b32 exec_lo, exec_lo, s5
	v_mov_b32_e32 v2, 0
	v_readfirstlane_b32 s6, v6
	v_readfirstlane_b32 s7, v7
	s_mov_b32 s5, exec_lo
	s_clause 0x1
	global_load_dwordx2 v[13:14], v2, s[38:39] offset:40
	global_load_dwordx4 v[9:12], v2, s[38:39]
	s_waitcnt vmcnt(1)
	v_readfirstlane_b32 s10, v13
	v_readfirstlane_b32 s11, v14
	s_and_b64 s[10:11], s[6:7], s[10:11]
	s_mul_i32 s16, s11, 24
	s_mul_hi_u32 s17, s10, 24
	s_mul_i32 s18, s10, 24
	s_add_i32 s17, s17, s16
	s_waitcnt vmcnt(0)
	v_add_co_u32 v6, vcc_lo, v9, s18
	v_add_co_ci_u32_e32 v7, vcc_lo, s17, v10, vcc_lo
	s_and_saveexec_b32 s16, s4
	s_cbranch_execz .LBB3_367
; %bb.366:
	v_mov_b32_e32 v13, s5
	v_mov_b32_e32 v14, v2
	v_mov_b32_e32 v15, 2
	v_mov_b32_e32 v16, 1
	global_store_dwordx4 v[6:7], v[13:16], off offset:8
.LBB3_367:
	s_or_b32 exec_lo, exec_lo, s16
	s_lshl_b64 s[10:11], s[10:11], 12
	s_mov_b32 s16, 0
	v_add_co_u32 v11, vcc_lo, v11, s10
	v_add_co_ci_u32_e32 v12, vcc_lo, s11, v12, vcc_lo
	s_mov_b32 s17, s16
	v_readfirstlane_b32 s10, v11
	v_add_co_u32 v11, vcc_lo, v11, v50
	s_mov_b32 s18, s16
	s_mov_b32 s19, s16
	v_and_or_b32 v0, 0xffffff1f, v0, 32
	v_mov_b32_e32 v3, v2
	v_readfirstlane_b32 s11, v12
	v_mov_b32_e32 v13, s16
	v_add_co_ci_u32_e32 v12, vcc_lo, 0, v12, vcc_lo
	v_mov_b32_e32 v14, s17
	v_mov_b32_e32 v15, s18
	;; [unrolled: 1-line block ×3, first 2 shown]
	global_store_dwordx4 v50, v[0:3], s[10:11]
	global_store_dwordx4 v50, v[13:16], s[10:11] offset:16
	global_store_dwordx4 v50, v[13:16], s[10:11] offset:32
	;; [unrolled: 1-line block ×3, first 2 shown]
	s_and_saveexec_b32 s5, s4
	s_cbranch_execz .LBB3_375
; %bb.368:
	v_mov_b32_e32 v13, 0
	v_mov_b32_e32 v14, s6
	;; [unrolled: 1-line block ×3, first 2 shown]
	s_clause 0x1
	global_load_dwordx2 v[16:17], v13, s[38:39] offset:32 glc dlc
	global_load_dwordx2 v[0:1], v13, s[38:39] offset:40
	s_waitcnt vmcnt(0)
	v_readfirstlane_b32 s10, v0
	v_readfirstlane_b32 s11, v1
	s_and_b64 s[10:11], s[10:11], s[6:7]
	s_mul_i32 s11, s11, 24
	s_mul_hi_u32 s16, s10, 24
	s_mul_i32 s10, s10, 24
	s_add_i32 s16, s16, s11
	v_add_co_u32 v9, vcc_lo, v9, s10
	v_add_co_ci_u32_e32 v10, vcc_lo, s16, v10, vcc_lo
	s_mov_b32 s10, exec_lo
	global_store_dwordx2 v[9:10], v[16:17], off
	s_waitcnt_vscnt null, 0x0
	global_atomic_cmpswap_x2 v[2:3], v13, v[14:17], s[38:39] offset:32 glc
	s_waitcnt vmcnt(0)
	v_cmpx_ne_u64_e64 v[2:3], v[16:17]
	s_cbranch_execz .LBB3_371
; %bb.369:
	s_mov_b32 s11, 0
.LBB3_370:                              ; =>This Inner Loop Header: Depth=1
	v_mov_b32_e32 v0, s6
	v_mov_b32_e32 v1, s7
	s_sleep 1
	global_store_dwordx2 v[9:10], v[2:3], off
	s_waitcnt_vscnt null, 0x0
	global_atomic_cmpswap_x2 v[0:1], v13, v[0:3], s[38:39] offset:32 glc
	s_waitcnt vmcnt(0)
	v_cmp_eq_u64_e32 vcc_lo, v[0:1], v[2:3]
	v_mov_b32_e32 v3, v1
	v_mov_b32_e32 v2, v0
	s_or_b32 s11, vcc_lo, s11
	s_andn2_b32 exec_lo, exec_lo, s11
	s_cbranch_execnz .LBB3_370
.LBB3_371:
	s_or_b32 exec_lo, exec_lo, s10
	v_mov_b32_e32 v3, 0
	s_mov_b32 s11, exec_lo
	s_mov_b32 s10, exec_lo
	v_mbcnt_lo_u32_b32 v2, s11, 0
	global_load_dwordx2 v[0:1], v3, s[38:39] offset:16
	v_cmpx_eq_u32_e32 0, v2
	s_cbranch_execz .LBB3_373
; %bb.372:
	s_bcnt1_i32_b32 s11, s11
	v_mov_b32_e32 v2, s11
	s_waitcnt vmcnt(0)
	global_atomic_add_x2 v[0:1], v[2:3], off offset:8
.LBB3_373:
	s_or_b32 exec_lo, exec_lo, s10
	s_waitcnt vmcnt(0)
	global_load_dwordx2 v[2:3], v[0:1], off offset:16
	s_waitcnt vmcnt(0)
	v_cmp_eq_u64_e32 vcc_lo, 0, v[2:3]
	s_cbranch_vccnz .LBB3_375
; %bb.374:
	global_load_dword v0, v[0:1], off offset:24
	v_mov_b32_e32 v1, 0
	s_waitcnt vmcnt(0)
	v_and_b32_e32 v9, 0x7fffff, v0
	s_waitcnt_vscnt null, 0x0
	global_store_dwordx2 v[2:3], v[0:1], off
	v_readfirstlane_b32 m0, v9
	s_sendmsg sendmsg(MSG_INTERRUPT)
.LBB3_375:
	s_or_b32 exec_lo, exec_lo, s5
	s_branch .LBB3_379
	.p2align	6
.LBB3_376:                              ;   in Loop: Header=BB3_379 Depth=1
	s_or_b32 exec_lo, exec_lo, s5
	v_readfirstlane_b32 s5, v0
	s_cmp_eq_u32 s5, 0
	s_cbranch_scc1 .LBB3_378
; %bb.377:                              ;   in Loop: Header=BB3_379 Depth=1
	s_sleep 1
	s_cbranch_execnz .LBB3_379
	s_branch .LBB3_381
	.p2align	6
.LBB3_378:
	s_branch .LBB3_381
.LBB3_379:                              ; =>This Inner Loop Header: Depth=1
	v_mov_b32_e32 v0, 1
	s_and_saveexec_b32 s5, s4
	s_cbranch_execz .LBB3_376
; %bb.380:                              ;   in Loop: Header=BB3_379 Depth=1
	global_load_dword v0, v[6:7], off offset:20 glc dlc
	s_waitcnt vmcnt(0)
	buffer_gl1_inv
	buffer_gl0_inv
	v_and_b32_e32 v0, 1, v0
	s_branch .LBB3_376
.LBB3_381:
	global_load_dwordx2 v[9:10], v[11:12], off
	s_and_saveexec_b32 s5, s4
	s_cbranch_execz .LBB3_385
; %bb.382:
	v_mov_b32_e32 v11, 0
	s_clause 0x2
	global_load_dwordx2 v[2:3], v11, s[38:39] offset:40
	global_load_dwordx2 v[12:13], v11, s[38:39] offset:24 glc dlc
	global_load_dwordx2 v[6:7], v11, s[38:39]
	s_waitcnt vmcnt(2)
	v_add_co_u32 v14, vcc_lo, v2, 1
	v_add_co_ci_u32_e32 v15, vcc_lo, 0, v3, vcc_lo
	v_add_co_u32 v0, vcc_lo, v14, s6
	v_add_co_ci_u32_e32 v1, vcc_lo, s7, v15, vcc_lo
	v_cmp_eq_u64_e32 vcc_lo, 0, v[0:1]
	v_cndmask_b32_e32 v1, v1, v15, vcc_lo
	v_cndmask_b32_e32 v0, v0, v14, vcc_lo
	v_and_b32_e32 v3, v1, v3
	v_and_b32_e32 v2, v0, v2
	v_mul_lo_u32 v3, v3, 24
	v_mul_hi_u32 v14, v2, 24
	v_mul_lo_u32 v2, v2, 24
	v_add_nc_u32_e32 v3, v14, v3
	s_waitcnt vmcnt(0)
	v_add_co_u32 v6, vcc_lo, v6, v2
	v_mov_b32_e32 v2, v12
	v_add_co_ci_u32_e32 v7, vcc_lo, v7, v3, vcc_lo
	v_mov_b32_e32 v3, v13
	global_store_dwordx2 v[6:7], v[12:13], off
	s_waitcnt_vscnt null, 0x0
	global_atomic_cmpswap_x2 v[2:3], v11, v[0:3], s[38:39] offset:24 glc
	s_waitcnt vmcnt(0)
	v_cmp_ne_u64_e32 vcc_lo, v[2:3], v[12:13]
	s_and_b32 exec_lo, exec_lo, vcc_lo
	s_cbranch_execz .LBB3_385
; %bb.383:
	s_mov_b32 s4, 0
.LBB3_384:                              ; =>This Inner Loop Header: Depth=1
	s_sleep 1
	global_store_dwordx2 v[6:7], v[2:3], off
	s_waitcnt_vscnt null, 0x0
	global_atomic_cmpswap_x2 v[12:13], v11, v[0:3], s[38:39] offset:24 glc
	s_waitcnt vmcnt(0)
	v_cmp_eq_u64_e32 vcc_lo, v[12:13], v[2:3]
	v_mov_b32_e32 v2, v12
	v_mov_b32_e32 v3, v13
	s_or_b32 s4, vcc_lo, s4
	s_andn2_b32 exec_lo, exec_lo, s4
	s_cbranch_execnz .LBB3_384
.LBB3_385:
	s_or_b32 exec_lo, exec_lo, s5
.LBB3_386:
	v_readfirstlane_b32 s4, v51
	v_mov_b32_e32 v6, 0
	v_mov_b32_e32 v7, 0
	v_cmp_eq_u32_e64 s4, s4, v51
	s_and_saveexec_b32 s5, s4
	s_cbranch_execz .LBB3_392
; %bb.387:
	s_waitcnt vmcnt(0)
	v_mov_b32_e32 v0, 0
	s_mov_b32 s6, exec_lo
	global_load_dwordx2 v[13:14], v0, s[38:39] offset:24 glc dlc
	s_waitcnt vmcnt(0)
	buffer_gl1_inv
	buffer_gl0_inv
	s_clause 0x1
	global_load_dwordx2 v[1:2], v0, s[38:39] offset:40
	global_load_dwordx2 v[6:7], v0, s[38:39]
	s_waitcnt vmcnt(1)
	v_and_b32_e32 v2, v2, v14
	v_and_b32_e32 v1, v1, v13
	v_mul_lo_u32 v2, v2, 24
	v_mul_hi_u32 v3, v1, 24
	v_mul_lo_u32 v1, v1, 24
	v_add_nc_u32_e32 v2, v3, v2
	s_waitcnt vmcnt(0)
	v_add_co_u32 v1, vcc_lo, v6, v1
	v_add_co_ci_u32_e32 v2, vcc_lo, v7, v2, vcc_lo
	global_load_dwordx2 v[11:12], v[1:2], off glc dlc
	s_waitcnt vmcnt(0)
	global_atomic_cmpswap_x2 v[6:7], v0, v[11:14], s[38:39] offset:24 glc
	s_waitcnt vmcnt(0)
	buffer_gl1_inv
	buffer_gl0_inv
	v_cmpx_ne_u64_e64 v[6:7], v[13:14]
	s_cbranch_execz .LBB3_391
; %bb.388:
	s_mov_b32 s7, 0
	.p2align	6
.LBB3_389:                              ; =>This Inner Loop Header: Depth=1
	s_sleep 1
	s_clause 0x1
	global_load_dwordx2 v[1:2], v0, s[38:39] offset:40
	global_load_dwordx2 v[11:12], v0, s[38:39]
	v_mov_b32_e32 v14, v7
	v_mov_b32_e32 v13, v6
	s_waitcnt vmcnt(1)
	v_and_b32_e32 v1, v1, v13
	v_and_b32_e32 v2, v2, v14
	s_waitcnt vmcnt(0)
	v_mad_u64_u32 v[6:7], null, v1, 24, v[11:12]
	v_mov_b32_e32 v1, v7
	v_mad_u64_u32 v[1:2], null, v2, 24, v[1:2]
	v_mov_b32_e32 v7, v1
	global_load_dwordx2 v[11:12], v[6:7], off glc dlc
	s_waitcnt vmcnt(0)
	global_atomic_cmpswap_x2 v[6:7], v0, v[11:14], s[38:39] offset:24 glc
	s_waitcnt vmcnt(0)
	buffer_gl1_inv
	buffer_gl0_inv
	v_cmp_eq_u64_e32 vcc_lo, v[6:7], v[13:14]
	s_or_b32 s7, vcc_lo, s7
	s_andn2_b32 exec_lo, exec_lo, s7
	s_cbranch_execnz .LBB3_389
; %bb.390:
	s_or_b32 exec_lo, exec_lo, s7
.LBB3_391:
	s_or_b32 exec_lo, exec_lo, s6
.LBB3_392:
	s_or_b32 exec_lo, exec_lo, s5
	s_waitcnt vmcnt(0)
	v_mov_b32_e32 v12, 0
	v_readfirstlane_b32 s6, v6
	v_readfirstlane_b32 s7, v7
	s_mov_b32 s5, exec_lo
	s_clause 0x1
	global_load_dwordx2 v[13:14], v12, s[38:39] offset:40
	global_load_dwordx4 v[0:3], v12, s[38:39]
	s_waitcnt vmcnt(1)
	v_readfirstlane_b32 s10, v13
	v_readfirstlane_b32 s11, v14
	s_and_b64 s[10:11], s[6:7], s[10:11]
	s_mul_i32 s16, s11, 24
	s_mul_hi_u32 s17, s10, 24
	s_mul_i32 s18, s10, 24
	s_add_i32 s17, s17, s16
	s_waitcnt vmcnt(0)
	v_add_co_u32 v6, vcc_lo, v0, s18
	v_add_co_ci_u32_e32 v7, vcc_lo, s17, v1, vcc_lo
	s_and_saveexec_b32 s16, s4
	s_cbranch_execz .LBB3_394
; %bb.393:
	v_mov_b32_e32 v11, s5
	v_mov_b32_e32 v14, v12
	;; [unrolled: 1-line block ×5, first 2 shown]
	global_store_dwordx4 v[6:7], v[13:16], off offset:8
.LBB3_394:
	s_or_b32 exec_lo, exec_lo, s16
	s_lshl_b64 s[10:11], s[10:11], 12
	s_mov_b32 s16, 0
	v_add_co_u32 v2, vcc_lo, v2, s10
	v_add_co_ci_u32_e32 v3, vcc_lo, s11, v3, vcc_lo
	s_mov_b32 s17, s16
	s_mov_b32 s18, s16
	;; [unrolled: 1-line block ×3, first 2 shown]
	v_and_or_b32 v9, 0xffffff1d, v9, 34
	v_mov_b32_e32 v11, 10
	v_readfirstlane_b32 s10, v2
	v_readfirstlane_b32 s11, v3
	v_mov_b32_e32 v13, s16
	v_mov_b32_e32 v14, s17
	;; [unrolled: 1-line block ×4, first 2 shown]
	global_store_dwordx4 v50, v[9:12], s[10:11]
	global_store_dwordx4 v50, v[13:16], s[10:11] offset:16
	global_store_dwordx4 v50, v[13:16], s[10:11] offset:32
	;; [unrolled: 1-line block ×3, first 2 shown]
	s_and_saveexec_b32 s5, s4
	s_cbranch_execz .LBB3_402
; %bb.395:
	v_mov_b32_e32 v11, 0
	v_mov_b32_e32 v12, s6
	v_mov_b32_e32 v13, s7
	s_clause 0x1
	global_load_dwordx2 v[14:15], v11, s[38:39] offset:32 glc dlc
	global_load_dwordx2 v[2:3], v11, s[38:39] offset:40
	s_waitcnt vmcnt(0)
	v_readfirstlane_b32 s10, v2
	v_readfirstlane_b32 s11, v3
	s_and_b64 s[10:11], s[10:11], s[6:7]
	s_mul_i32 s11, s11, 24
	s_mul_hi_u32 s16, s10, 24
	s_mul_i32 s10, s10, 24
	s_add_i32 s16, s16, s11
	v_add_co_u32 v9, vcc_lo, v0, s10
	v_add_co_ci_u32_e32 v10, vcc_lo, s16, v1, vcc_lo
	s_mov_b32 s10, exec_lo
	global_store_dwordx2 v[9:10], v[14:15], off
	s_waitcnt_vscnt null, 0x0
	global_atomic_cmpswap_x2 v[2:3], v11, v[12:15], s[38:39] offset:32 glc
	s_waitcnt vmcnt(0)
	v_cmpx_ne_u64_e64 v[2:3], v[14:15]
	s_cbranch_execz .LBB3_398
; %bb.396:
	s_mov_b32 s11, 0
.LBB3_397:                              ; =>This Inner Loop Header: Depth=1
	v_mov_b32_e32 v0, s6
	v_mov_b32_e32 v1, s7
	s_sleep 1
	global_store_dwordx2 v[9:10], v[2:3], off
	s_waitcnt_vscnt null, 0x0
	global_atomic_cmpswap_x2 v[0:1], v11, v[0:3], s[38:39] offset:32 glc
	s_waitcnt vmcnt(0)
	v_cmp_eq_u64_e32 vcc_lo, v[0:1], v[2:3]
	v_mov_b32_e32 v3, v1
	v_mov_b32_e32 v2, v0
	s_or_b32 s11, vcc_lo, s11
	s_andn2_b32 exec_lo, exec_lo, s11
	s_cbranch_execnz .LBB3_397
.LBB3_398:
	s_or_b32 exec_lo, exec_lo, s10
	v_mov_b32_e32 v3, 0
	s_mov_b32 s11, exec_lo
	s_mov_b32 s10, exec_lo
	v_mbcnt_lo_u32_b32 v2, s11, 0
	global_load_dwordx2 v[0:1], v3, s[38:39] offset:16
	v_cmpx_eq_u32_e32 0, v2
	s_cbranch_execz .LBB3_400
; %bb.399:
	s_bcnt1_i32_b32 s11, s11
	v_mov_b32_e32 v2, s11
	s_waitcnt vmcnt(0)
	global_atomic_add_x2 v[0:1], v[2:3], off offset:8
.LBB3_400:
	s_or_b32 exec_lo, exec_lo, s10
	s_waitcnt vmcnt(0)
	global_load_dwordx2 v[2:3], v[0:1], off offset:16
	s_waitcnt vmcnt(0)
	v_cmp_eq_u64_e32 vcc_lo, 0, v[2:3]
	s_cbranch_vccnz .LBB3_402
; %bb.401:
	global_load_dword v0, v[0:1], off offset:24
	v_mov_b32_e32 v1, 0
	s_waitcnt vmcnt(0)
	v_and_b32_e32 v9, 0x7fffff, v0
	s_waitcnt_vscnt null, 0x0
	global_store_dwordx2 v[2:3], v[0:1], off
	v_readfirstlane_b32 m0, v9
	s_sendmsg sendmsg(MSG_INTERRUPT)
.LBB3_402:
	s_or_b32 exec_lo, exec_lo, s5
	s_branch .LBB3_406
	.p2align	6
.LBB3_403:                              ;   in Loop: Header=BB3_406 Depth=1
	s_or_b32 exec_lo, exec_lo, s5
	v_readfirstlane_b32 s5, v0
	s_cmp_eq_u32 s5, 0
	s_cbranch_scc1 .LBB3_405
; %bb.404:                              ;   in Loop: Header=BB3_406 Depth=1
	s_sleep 1
	s_cbranch_execnz .LBB3_406
	s_branch .LBB3_408
	.p2align	6
.LBB3_405:
	s_branch .LBB3_408
.LBB3_406:                              ; =>This Inner Loop Header: Depth=1
	v_mov_b32_e32 v0, 1
	s_and_saveexec_b32 s5, s4
	s_cbranch_execz .LBB3_403
; %bb.407:                              ;   in Loop: Header=BB3_406 Depth=1
	global_load_dword v0, v[6:7], off offset:20 glc dlc
	s_waitcnt vmcnt(0)
	buffer_gl1_inv
	buffer_gl0_inv
	v_and_b32_e32 v0, 1, v0
	s_branch .LBB3_403
.LBB3_408:
	s_and_saveexec_b32 s5, s4
	s_cbranch_execz .LBB3_412
; %bb.409:
	v_mov_b32_e32 v9, 0
	s_clause 0x2
	global_load_dwordx2 v[2:3], v9, s[38:39] offset:40
	global_load_dwordx2 v[10:11], v9, s[38:39] offset:24 glc dlc
	global_load_dwordx2 v[6:7], v9, s[38:39]
	s_waitcnt vmcnt(2)
	v_add_co_u32 v12, vcc_lo, v2, 1
	v_add_co_ci_u32_e32 v13, vcc_lo, 0, v3, vcc_lo
	v_add_co_u32 v0, vcc_lo, v12, s6
	v_add_co_ci_u32_e32 v1, vcc_lo, s7, v13, vcc_lo
	v_cmp_eq_u64_e32 vcc_lo, 0, v[0:1]
	v_cndmask_b32_e32 v1, v1, v13, vcc_lo
	v_cndmask_b32_e32 v0, v0, v12, vcc_lo
	v_and_b32_e32 v3, v1, v3
	v_and_b32_e32 v2, v0, v2
	v_mul_lo_u32 v3, v3, 24
	v_mul_hi_u32 v12, v2, 24
	v_mul_lo_u32 v2, v2, 24
	v_add_nc_u32_e32 v3, v12, v3
	s_waitcnt vmcnt(0)
	v_add_co_u32 v6, vcc_lo, v6, v2
	v_mov_b32_e32 v2, v10
	v_add_co_ci_u32_e32 v7, vcc_lo, v7, v3, vcc_lo
	v_mov_b32_e32 v3, v11
	global_store_dwordx2 v[6:7], v[10:11], off
	s_waitcnt_vscnt null, 0x0
	global_atomic_cmpswap_x2 v[2:3], v9, v[0:3], s[38:39] offset:24 glc
	s_waitcnt vmcnt(0)
	v_cmp_ne_u64_e32 vcc_lo, v[2:3], v[10:11]
	s_and_b32 exec_lo, exec_lo, vcc_lo
	s_cbranch_execz .LBB3_412
; %bb.410:
	s_mov_b32 s4, 0
.LBB3_411:                              ; =>This Inner Loop Header: Depth=1
	s_sleep 1
	global_store_dwordx2 v[6:7], v[2:3], off
	s_waitcnt_vscnt null, 0x0
	global_atomic_cmpswap_x2 v[10:11], v9, v[0:3], s[38:39] offset:24 glc
	s_waitcnt vmcnt(0)
	v_cmp_eq_u64_e32 vcc_lo, v[10:11], v[2:3]
	v_mov_b32_e32 v2, v10
	v_mov_b32_e32 v3, v11
	s_or_b32 s4, vcc_lo, s4
	s_andn2_b32 exec_lo, exec_lo, s4
	s_cbranch_execnz .LBB3_411
.LBB3_412:
	s_or_b32 exec_lo, exec_lo, s5
	v_readfirstlane_b32 s4, v51
	v_mov_b32_e32 v6, 0
	v_mov_b32_e32 v7, 0
	v_cmp_eq_u32_e64 s4, s4, v51
	s_and_saveexec_b32 s5, s4
	s_cbranch_execz .LBB3_418
; %bb.413:
	v_mov_b32_e32 v0, 0
	s_mov_b32 s6, exec_lo
	global_load_dwordx2 v[11:12], v0, s[38:39] offset:24 glc dlc
	s_waitcnt vmcnt(0)
	buffer_gl1_inv
	buffer_gl0_inv
	s_clause 0x1
	global_load_dwordx2 v[1:2], v0, s[38:39] offset:40
	global_load_dwordx2 v[6:7], v0, s[38:39]
	s_waitcnt vmcnt(1)
	v_and_b32_e32 v2, v2, v12
	v_and_b32_e32 v1, v1, v11
	v_mul_lo_u32 v2, v2, 24
	v_mul_hi_u32 v3, v1, 24
	v_mul_lo_u32 v1, v1, 24
	v_add_nc_u32_e32 v2, v3, v2
	s_waitcnt vmcnt(0)
	v_add_co_u32 v1, vcc_lo, v6, v1
	v_add_co_ci_u32_e32 v2, vcc_lo, v7, v2, vcc_lo
	global_load_dwordx2 v[9:10], v[1:2], off glc dlc
	s_waitcnt vmcnt(0)
	global_atomic_cmpswap_x2 v[6:7], v0, v[9:12], s[38:39] offset:24 glc
	s_waitcnt vmcnt(0)
	buffer_gl1_inv
	buffer_gl0_inv
	v_cmpx_ne_u64_e64 v[6:7], v[11:12]
	s_cbranch_execz .LBB3_417
; %bb.414:
	s_mov_b32 s7, 0
	.p2align	6
.LBB3_415:                              ; =>This Inner Loop Header: Depth=1
	s_sleep 1
	s_clause 0x1
	global_load_dwordx2 v[1:2], v0, s[38:39] offset:40
	global_load_dwordx2 v[9:10], v0, s[38:39]
	v_mov_b32_e32 v12, v7
	v_mov_b32_e32 v11, v6
	s_waitcnt vmcnt(1)
	v_and_b32_e32 v1, v1, v11
	v_and_b32_e32 v2, v2, v12
	s_waitcnt vmcnt(0)
	v_mad_u64_u32 v[6:7], null, v1, 24, v[9:10]
	v_mov_b32_e32 v1, v7
	v_mad_u64_u32 v[1:2], null, v2, 24, v[1:2]
	v_mov_b32_e32 v7, v1
	global_load_dwordx2 v[9:10], v[6:7], off glc dlc
	s_waitcnt vmcnt(0)
	global_atomic_cmpswap_x2 v[6:7], v0, v[9:12], s[38:39] offset:24 glc
	s_waitcnt vmcnt(0)
	buffer_gl1_inv
	buffer_gl0_inv
	v_cmp_eq_u64_e32 vcc_lo, v[6:7], v[11:12]
	s_or_b32 s7, vcc_lo, s7
	s_andn2_b32 exec_lo, exec_lo, s7
	s_cbranch_execnz .LBB3_415
; %bb.416:
	s_or_b32 exec_lo, exec_lo, s7
.LBB3_417:
	s_or_b32 exec_lo, exec_lo, s6
.LBB3_418:
	s_or_b32 exec_lo, exec_lo, s5
	v_mov_b32_e32 v10, 0
	v_readfirstlane_b32 s6, v6
	v_readfirstlane_b32 s7, v7
	s_mov_b32 s5, exec_lo
	s_clause 0x1
	global_load_dwordx2 v[11:12], v10, s[38:39] offset:40
	global_load_dwordx4 v[0:3], v10, s[38:39]
	s_waitcnt vmcnt(1)
	v_readfirstlane_b32 s10, v11
	v_readfirstlane_b32 s11, v12
	s_and_b64 s[10:11], s[6:7], s[10:11]
	s_mul_i32 s16, s11, 24
	s_mul_hi_u32 s17, s10, 24
	s_mul_i32 s18, s10, 24
	s_add_i32 s17, s17, s16
	s_waitcnt vmcnt(0)
	v_add_co_u32 v6, vcc_lo, v0, s18
	v_add_co_ci_u32_e32 v7, vcc_lo, s17, v1, vcc_lo
	s_and_saveexec_b32 s16, s4
	s_cbranch_execz .LBB3_420
; %bb.419:
	v_mov_b32_e32 v9, s5
	v_mov_b32_e32 v11, 2
	;; [unrolled: 1-line block ×3, first 2 shown]
	global_store_dwordx4 v[6:7], v[9:12], off offset:8
.LBB3_420:
	s_or_b32 exec_lo, exec_lo, s16
	s_lshl_b64 s[10:11], s[10:11], 12
	s_mov_b32 s16, 0
	v_add_co_u32 v2, vcc_lo, v2, s10
	v_add_co_ci_u32_e32 v3, vcc_lo, s11, v3, vcc_lo
	s_mov_b32 s17, s16
	v_add_co_u32 v13, vcc_lo, v2, v50
	s_mov_b32 s18, s16
	s_mov_b32 s19, s16
	v_mov_b32_e32 v9, 33
	v_mov_b32_e32 v11, v10
	;; [unrolled: 1-line block ×3, first 2 shown]
	v_readfirstlane_b32 s10, v2
	v_readfirstlane_b32 s11, v3
	v_mov_b32_e32 v15, s16
	v_add_co_ci_u32_e32 v14, vcc_lo, 0, v3, vcc_lo
	v_mov_b32_e32 v16, s17
	v_mov_b32_e32 v17, s18
	;; [unrolled: 1-line block ×3, first 2 shown]
	global_store_dwordx4 v50, v[9:12], s[10:11]
	global_store_dwordx4 v50, v[15:18], s[10:11] offset:16
	global_store_dwordx4 v50, v[15:18], s[10:11] offset:32
	;; [unrolled: 1-line block ×3, first 2 shown]
	s_and_saveexec_b32 s5, s4
	s_cbranch_execz .LBB3_428
; %bb.421:
	v_mov_b32_e32 v11, 0
	v_mov_b32_e32 v15, s6
	;; [unrolled: 1-line block ×3, first 2 shown]
	s_clause 0x1
	global_load_dwordx2 v[17:18], v11, s[38:39] offset:32 glc dlc
	global_load_dwordx2 v[2:3], v11, s[38:39] offset:40
	s_waitcnt vmcnt(0)
	v_readfirstlane_b32 s10, v2
	v_readfirstlane_b32 s11, v3
	s_and_b64 s[10:11], s[10:11], s[6:7]
	s_mul_i32 s11, s11, 24
	s_mul_hi_u32 s16, s10, 24
	s_mul_i32 s10, s10, 24
	s_add_i32 s16, s16, s11
	v_add_co_u32 v9, vcc_lo, v0, s10
	v_add_co_ci_u32_e32 v10, vcc_lo, s16, v1, vcc_lo
	s_mov_b32 s10, exec_lo
	global_store_dwordx2 v[9:10], v[17:18], off
	s_waitcnt_vscnt null, 0x0
	global_atomic_cmpswap_x2 v[2:3], v11, v[15:18], s[38:39] offset:32 glc
	s_waitcnt vmcnt(0)
	v_cmpx_ne_u64_e64 v[2:3], v[17:18]
	s_cbranch_execz .LBB3_424
; %bb.422:
	s_mov_b32 s11, 0
.LBB3_423:                              ; =>This Inner Loop Header: Depth=1
	v_mov_b32_e32 v0, s6
	v_mov_b32_e32 v1, s7
	s_sleep 1
	global_store_dwordx2 v[9:10], v[2:3], off
	s_waitcnt_vscnt null, 0x0
	global_atomic_cmpswap_x2 v[0:1], v11, v[0:3], s[38:39] offset:32 glc
	s_waitcnt vmcnt(0)
	v_cmp_eq_u64_e32 vcc_lo, v[0:1], v[2:3]
	v_mov_b32_e32 v3, v1
	v_mov_b32_e32 v2, v0
	s_or_b32 s11, vcc_lo, s11
	s_andn2_b32 exec_lo, exec_lo, s11
	s_cbranch_execnz .LBB3_423
.LBB3_424:
	s_or_b32 exec_lo, exec_lo, s10
	v_mov_b32_e32 v3, 0
	s_mov_b32 s11, exec_lo
	s_mov_b32 s10, exec_lo
	v_mbcnt_lo_u32_b32 v2, s11, 0
	global_load_dwordx2 v[0:1], v3, s[38:39] offset:16
	v_cmpx_eq_u32_e32 0, v2
	s_cbranch_execz .LBB3_426
; %bb.425:
	s_bcnt1_i32_b32 s11, s11
	v_mov_b32_e32 v2, s11
	s_waitcnt vmcnt(0)
	global_atomic_add_x2 v[0:1], v[2:3], off offset:8
.LBB3_426:
	s_or_b32 exec_lo, exec_lo, s10
	s_waitcnt vmcnt(0)
	global_load_dwordx2 v[2:3], v[0:1], off offset:16
	s_waitcnt vmcnt(0)
	v_cmp_eq_u64_e32 vcc_lo, 0, v[2:3]
	s_cbranch_vccnz .LBB3_428
; %bb.427:
	global_load_dword v0, v[0:1], off offset:24
	v_mov_b32_e32 v1, 0
	s_waitcnt vmcnt(0)
	v_and_b32_e32 v9, 0x7fffff, v0
	s_waitcnt_vscnt null, 0x0
	global_store_dwordx2 v[2:3], v[0:1], off
	v_readfirstlane_b32 m0, v9
	s_sendmsg sendmsg(MSG_INTERRUPT)
.LBB3_428:
	s_or_b32 exec_lo, exec_lo, s5
	s_branch .LBB3_432
	.p2align	6
.LBB3_429:                              ;   in Loop: Header=BB3_432 Depth=1
	s_or_b32 exec_lo, exec_lo, s5
	v_readfirstlane_b32 s5, v0
	s_cmp_eq_u32 s5, 0
	s_cbranch_scc1 .LBB3_431
; %bb.430:                              ;   in Loop: Header=BB3_432 Depth=1
	s_sleep 1
	s_cbranch_execnz .LBB3_432
	s_branch .LBB3_434
	.p2align	6
.LBB3_431:
	s_branch .LBB3_434
.LBB3_432:                              ; =>This Inner Loop Header: Depth=1
	v_mov_b32_e32 v0, 1
	s_and_saveexec_b32 s5, s4
	s_cbranch_execz .LBB3_429
; %bb.433:                              ;   in Loop: Header=BB3_432 Depth=1
	global_load_dword v0, v[6:7], off offset:20 glc dlc
	s_waitcnt vmcnt(0)
	buffer_gl1_inv
	buffer_gl0_inv
	v_and_b32_e32 v0, 1, v0
	s_branch .LBB3_429
.LBB3_434:
	global_load_dwordx2 v[9:10], v[13:14], off
	s_and_saveexec_b32 s5, s4
	s_cbranch_execz .LBB3_438
; %bb.435:
	v_mov_b32_e32 v11, 0
	s_clause 0x2
	global_load_dwordx2 v[2:3], v11, s[38:39] offset:40
	global_load_dwordx2 v[12:13], v11, s[38:39] offset:24 glc dlc
	global_load_dwordx2 v[6:7], v11, s[38:39]
	s_waitcnt vmcnt(2)
	v_add_co_u32 v14, vcc_lo, v2, 1
	v_add_co_ci_u32_e32 v15, vcc_lo, 0, v3, vcc_lo
	v_add_co_u32 v0, vcc_lo, v14, s6
	v_add_co_ci_u32_e32 v1, vcc_lo, s7, v15, vcc_lo
	v_cmp_eq_u64_e32 vcc_lo, 0, v[0:1]
	v_cndmask_b32_e32 v1, v1, v15, vcc_lo
	v_cndmask_b32_e32 v0, v0, v14, vcc_lo
	v_and_b32_e32 v3, v1, v3
	v_and_b32_e32 v2, v0, v2
	v_mul_lo_u32 v3, v3, 24
	v_mul_hi_u32 v14, v2, 24
	v_mul_lo_u32 v2, v2, 24
	v_add_nc_u32_e32 v3, v14, v3
	s_waitcnt vmcnt(0)
	v_add_co_u32 v6, vcc_lo, v6, v2
	v_mov_b32_e32 v2, v12
	v_add_co_ci_u32_e32 v7, vcc_lo, v7, v3, vcc_lo
	v_mov_b32_e32 v3, v13
	global_store_dwordx2 v[6:7], v[12:13], off
	s_waitcnt_vscnt null, 0x0
	global_atomic_cmpswap_x2 v[2:3], v11, v[0:3], s[38:39] offset:24 glc
	s_waitcnt vmcnt(0)
	v_cmp_ne_u64_e32 vcc_lo, v[2:3], v[12:13]
	s_and_b32 exec_lo, exec_lo, vcc_lo
	s_cbranch_execz .LBB3_438
; %bb.436:
	s_mov_b32 s4, 0
.LBB3_437:                              ; =>This Inner Loop Header: Depth=1
	s_sleep 1
	global_store_dwordx2 v[6:7], v[2:3], off
	s_waitcnt_vscnt null, 0x0
	global_atomic_cmpswap_x2 v[12:13], v11, v[0:3], s[38:39] offset:24 glc
	s_waitcnt vmcnt(0)
	v_cmp_eq_u64_e32 vcc_lo, v[12:13], v[2:3]
	v_mov_b32_e32 v2, v12
	v_mov_b32_e32 v3, v13
	s_or_b32 s4, vcc_lo, s4
	s_andn2_b32 exec_lo, exec_lo, s4
	s_cbranch_execnz .LBB3_437
.LBB3_438:
	s_or_b32 exec_lo, exec_lo, s5
	s_and_b32 vcc_lo, exec_lo, s15
	s_cbranch_vccz .LBB3_517
; %bb.439:
	s_waitcnt vmcnt(0)
	v_and_b32_e32 v31, 2, v9
	v_mov_b32_e32 v12, 0
	v_and_b32_e32 v0, -3, v9
	v_mov_b32_e32 v1, v10
	v_mov_b32_e32 v13, 2
	;; [unrolled: 1-line block ×3, first 2 shown]
	s_mov_b64 s[10:11], 3
	s_getpc_b64 s[6:7]
	s_add_u32 s6, s6, .str.8@rel32@lo+4
	s_addc_u32 s7, s7, .str.8@rel32@hi+12
	s_branch .LBB3_441
.LBB3_440:                              ;   in Loop: Header=BB3_441 Depth=1
	s_or_b32 exec_lo, exec_lo, s5
	s_sub_u32 s10, s10, s16
	s_subb_u32 s11, s11, s17
	s_add_u32 s6, s6, s16
	s_addc_u32 s7, s7, s17
	s_cmp_lg_u64 s[10:11], 0
	s_cbranch_scc0 .LBB3_516
.LBB3_441:                              ; =>This Loop Header: Depth=1
                                        ;     Child Loop BB3_450 Depth 2
                                        ;     Child Loop BB3_446 Depth 2
	;; [unrolled: 1-line block ×11, first 2 shown]
	v_cmp_lt_u64_e64 s4, s[10:11], 56
	v_cmp_gt_u64_e64 s5, s[10:11], 7
                                        ; implicit-def: $vgpr2_vgpr3
                                        ; implicit-def: $sgpr22
	s_and_b32 s4, s4, exec_lo
	s_cselect_b32 s17, s11, 0
	s_cselect_b32 s16, s10, 56
	s_and_b32 vcc_lo, exec_lo, s5
	s_mov_b32 s4, -1
	s_cbranch_vccz .LBB3_448
; %bb.442:                              ;   in Loop: Header=BB3_441 Depth=1
	s_andn2_b32 vcc_lo, exec_lo, s4
	s_mov_b64 s[4:5], s[6:7]
	s_cbranch_vccz .LBB3_452
.LBB3_443:                              ;   in Loop: Header=BB3_441 Depth=1
	s_cmp_gt_u32 s22, 7
	s_cbranch_scc1 .LBB3_453
.LBB3_444:                              ;   in Loop: Header=BB3_441 Depth=1
	v_mov_b32_e32 v15, 0
	v_mov_b32_e32 v16, 0
	s_cmp_eq_u32 s22, 0
	s_cbranch_scc1 .LBB3_447
; %bb.445:                              ;   in Loop: Header=BB3_441 Depth=1
	s_mov_b64 s[18:19], 0
	s_mov_b64 s[20:21], 0
.LBB3_446:                              ;   Parent Loop BB3_441 Depth=1
                                        ; =>  This Inner Loop Header: Depth=2
	s_add_u32 s24, s4, s20
	s_addc_u32 s25, s5, s21
	s_add_u32 s20, s20, 1
	global_load_ubyte v6, v12, s[24:25]
	s_addc_u32 s21, s21, 0
	s_waitcnt vmcnt(0)
	v_and_b32_e32 v11, 0xffff, v6
	v_lshlrev_b64 v[6:7], s18, v[11:12]
	s_add_u32 s18, s18, 8
	s_addc_u32 s19, s19, 0
	s_cmp_lg_u32 s22, s20
	v_or_b32_e32 v15, v6, v15
	v_or_b32_e32 v16, v7, v16
	s_cbranch_scc1 .LBB3_446
.LBB3_447:                              ;   in Loop: Header=BB3_441 Depth=1
	s_mov_b32 s23, 0
	s_cbranch_execz .LBB3_454
	s_branch .LBB3_455
.LBB3_448:                              ;   in Loop: Header=BB3_441 Depth=1
	s_waitcnt vmcnt(0)
	v_mov_b32_e32 v2, 0
	v_mov_b32_e32 v3, 0
	s_cmp_eq_u64 s[10:11], 0
	s_mov_b64 s[4:5], 0
	s_cbranch_scc1 .LBB3_451
; %bb.449:                              ;   in Loop: Header=BB3_441 Depth=1
	v_mov_b32_e32 v2, 0
	v_mov_b32_e32 v3, 0
	s_lshl_b64 s[18:19], s[16:17], 3
	s_mov_b64 s[20:21], s[6:7]
.LBB3_450:                              ;   Parent Loop BB3_441 Depth=1
                                        ; =>  This Inner Loop Header: Depth=2
	global_load_ubyte v6, v12, s[20:21]
	s_waitcnt vmcnt(0)
	v_and_b32_e32 v11, 0xffff, v6
	v_lshlrev_b64 v[6:7], s4, v[11:12]
	s_add_u32 s4, s4, 8
	s_addc_u32 s5, s5, 0
	s_add_u32 s20, s20, 1
	s_addc_u32 s21, s21, 0
	s_cmp_lg_u32 s18, s4
	v_or_b32_e32 v2, v6, v2
	v_or_b32_e32 v3, v7, v3
	s_cbranch_scc1 .LBB3_450
.LBB3_451:                              ;   in Loop: Header=BB3_441 Depth=1
	s_mov_b32 s22, 0
	s_mov_b64 s[4:5], s[6:7]
	s_cbranch_execnz .LBB3_443
.LBB3_452:                              ;   in Loop: Header=BB3_441 Depth=1
	global_load_dwordx2 v[2:3], v12, s[6:7]
	s_add_i32 s22, s16, -8
	s_add_u32 s4, s6, 8
	s_addc_u32 s5, s7, 0
	s_cmp_gt_u32 s22, 7
	s_cbranch_scc0 .LBB3_444
.LBB3_453:                              ;   in Loop: Header=BB3_441 Depth=1
                                        ; implicit-def: $vgpr15_vgpr16
                                        ; implicit-def: $sgpr23
.LBB3_454:                              ;   in Loop: Header=BB3_441 Depth=1
	global_load_dwordx2 v[15:16], v12, s[4:5]
	s_add_i32 s23, s22, -8
	s_add_u32 s4, s4, 8
	s_addc_u32 s5, s5, 0
.LBB3_455:                              ;   in Loop: Header=BB3_441 Depth=1
	s_cmp_gt_u32 s23, 7
	s_cbranch_scc1 .LBB3_460
; %bb.456:                              ;   in Loop: Header=BB3_441 Depth=1
	v_mov_b32_e32 v17, 0
	v_mov_b32_e32 v18, 0
	s_cmp_eq_u32 s23, 0
	s_cbranch_scc1 .LBB3_459
; %bb.457:                              ;   in Loop: Header=BB3_441 Depth=1
	s_mov_b64 s[18:19], 0
	s_mov_b64 s[20:21], 0
.LBB3_458:                              ;   Parent Loop BB3_441 Depth=1
                                        ; =>  This Inner Loop Header: Depth=2
	s_add_u32 s24, s4, s20
	s_addc_u32 s25, s5, s21
	s_add_u32 s20, s20, 1
	global_load_ubyte v6, v12, s[24:25]
	s_addc_u32 s21, s21, 0
	s_waitcnt vmcnt(0)
	v_and_b32_e32 v11, 0xffff, v6
	v_lshlrev_b64 v[6:7], s18, v[11:12]
	s_add_u32 s18, s18, 8
	s_addc_u32 s19, s19, 0
	s_cmp_lg_u32 s23, s20
	v_or_b32_e32 v17, v6, v17
	v_or_b32_e32 v18, v7, v18
	s_cbranch_scc1 .LBB3_458
.LBB3_459:                              ;   in Loop: Header=BB3_441 Depth=1
	s_mov_b32 s22, 0
	s_cbranch_execz .LBB3_461
	s_branch .LBB3_462
.LBB3_460:                              ;   in Loop: Header=BB3_441 Depth=1
                                        ; implicit-def: $sgpr22
.LBB3_461:                              ;   in Loop: Header=BB3_441 Depth=1
	global_load_dwordx2 v[17:18], v12, s[4:5]
	s_add_i32 s22, s23, -8
	s_add_u32 s4, s4, 8
	s_addc_u32 s5, s5, 0
.LBB3_462:                              ;   in Loop: Header=BB3_441 Depth=1
	s_cmp_gt_u32 s22, 7
	s_cbranch_scc1 .LBB3_467
; %bb.463:                              ;   in Loop: Header=BB3_441 Depth=1
	v_mov_b32_e32 v19, 0
	v_mov_b32_e32 v20, 0
	s_cmp_eq_u32 s22, 0
	s_cbranch_scc1 .LBB3_466
; %bb.464:                              ;   in Loop: Header=BB3_441 Depth=1
	s_mov_b64 s[18:19], 0
	s_mov_b64 s[20:21], 0
.LBB3_465:                              ;   Parent Loop BB3_441 Depth=1
                                        ; =>  This Inner Loop Header: Depth=2
	s_add_u32 s24, s4, s20
	s_addc_u32 s25, s5, s21
	s_add_u32 s20, s20, 1
	global_load_ubyte v6, v12, s[24:25]
	s_addc_u32 s21, s21, 0
	s_waitcnt vmcnt(0)
	v_and_b32_e32 v11, 0xffff, v6
	v_lshlrev_b64 v[6:7], s18, v[11:12]
	s_add_u32 s18, s18, 8
	s_addc_u32 s19, s19, 0
	s_cmp_lg_u32 s22, s20
	v_or_b32_e32 v19, v6, v19
	v_or_b32_e32 v20, v7, v20
	s_cbranch_scc1 .LBB3_465
.LBB3_466:                              ;   in Loop: Header=BB3_441 Depth=1
	s_mov_b32 s23, 0
	s_cbranch_execz .LBB3_468
	s_branch .LBB3_469
.LBB3_467:                              ;   in Loop: Header=BB3_441 Depth=1
                                        ; implicit-def: $vgpr19_vgpr20
                                        ; implicit-def: $sgpr23
.LBB3_468:                              ;   in Loop: Header=BB3_441 Depth=1
	global_load_dwordx2 v[19:20], v12, s[4:5]
	s_add_i32 s23, s22, -8
	s_add_u32 s4, s4, 8
	s_addc_u32 s5, s5, 0
.LBB3_469:                              ;   in Loop: Header=BB3_441 Depth=1
	s_cmp_gt_u32 s23, 7
	s_cbranch_scc1 .LBB3_474
; %bb.470:                              ;   in Loop: Header=BB3_441 Depth=1
	v_mov_b32_e32 v21, 0
	v_mov_b32_e32 v22, 0
	s_cmp_eq_u32 s23, 0
	s_cbranch_scc1 .LBB3_473
; %bb.471:                              ;   in Loop: Header=BB3_441 Depth=1
	s_mov_b64 s[18:19], 0
	s_mov_b64 s[20:21], 0
.LBB3_472:                              ;   Parent Loop BB3_441 Depth=1
                                        ; =>  This Inner Loop Header: Depth=2
	s_add_u32 s24, s4, s20
	s_addc_u32 s25, s5, s21
	s_add_u32 s20, s20, 1
	global_load_ubyte v6, v12, s[24:25]
	s_addc_u32 s21, s21, 0
	s_waitcnt vmcnt(0)
	v_and_b32_e32 v11, 0xffff, v6
	v_lshlrev_b64 v[6:7], s18, v[11:12]
	s_add_u32 s18, s18, 8
	s_addc_u32 s19, s19, 0
	s_cmp_lg_u32 s23, s20
	v_or_b32_e32 v21, v6, v21
	v_or_b32_e32 v22, v7, v22
	s_cbranch_scc1 .LBB3_472
.LBB3_473:                              ;   in Loop: Header=BB3_441 Depth=1
	s_mov_b32 s22, 0
	s_cbranch_execz .LBB3_475
	s_branch .LBB3_476
.LBB3_474:                              ;   in Loop: Header=BB3_441 Depth=1
                                        ; implicit-def: $sgpr22
.LBB3_475:                              ;   in Loop: Header=BB3_441 Depth=1
	global_load_dwordx2 v[21:22], v12, s[4:5]
	s_add_i32 s22, s23, -8
	s_add_u32 s4, s4, 8
	s_addc_u32 s5, s5, 0
.LBB3_476:                              ;   in Loop: Header=BB3_441 Depth=1
	s_cmp_gt_u32 s22, 7
	s_cbranch_scc1 .LBB3_481
; %bb.477:                              ;   in Loop: Header=BB3_441 Depth=1
	v_mov_b32_e32 v23, 0
	v_mov_b32_e32 v24, 0
	s_cmp_eq_u32 s22, 0
	s_cbranch_scc1 .LBB3_480
; %bb.478:                              ;   in Loop: Header=BB3_441 Depth=1
	s_mov_b64 s[18:19], 0
	s_mov_b64 s[20:21], 0
.LBB3_479:                              ;   Parent Loop BB3_441 Depth=1
                                        ; =>  This Inner Loop Header: Depth=2
	s_add_u32 s24, s4, s20
	s_addc_u32 s25, s5, s21
	s_add_u32 s20, s20, 1
	global_load_ubyte v6, v12, s[24:25]
	s_addc_u32 s21, s21, 0
	s_waitcnt vmcnt(0)
	v_and_b32_e32 v11, 0xffff, v6
	v_lshlrev_b64 v[6:7], s18, v[11:12]
	s_add_u32 s18, s18, 8
	s_addc_u32 s19, s19, 0
	s_cmp_lg_u32 s22, s20
	v_or_b32_e32 v23, v6, v23
	v_or_b32_e32 v24, v7, v24
	s_cbranch_scc1 .LBB3_479
.LBB3_480:                              ;   in Loop: Header=BB3_441 Depth=1
	s_mov_b32 s23, 0
	s_cbranch_execz .LBB3_482
	s_branch .LBB3_483
.LBB3_481:                              ;   in Loop: Header=BB3_441 Depth=1
                                        ; implicit-def: $vgpr23_vgpr24
                                        ; implicit-def: $sgpr23
.LBB3_482:                              ;   in Loop: Header=BB3_441 Depth=1
	global_load_dwordx2 v[23:24], v12, s[4:5]
	s_add_i32 s23, s22, -8
	s_add_u32 s4, s4, 8
	s_addc_u32 s5, s5, 0
.LBB3_483:                              ;   in Loop: Header=BB3_441 Depth=1
	s_cmp_gt_u32 s23, 7
	s_cbranch_scc1 .LBB3_488
; %bb.484:                              ;   in Loop: Header=BB3_441 Depth=1
	v_mov_b32_e32 v25, 0
	v_mov_b32_e32 v26, 0
	s_cmp_eq_u32 s23, 0
	s_cbranch_scc1 .LBB3_487
; %bb.485:                              ;   in Loop: Header=BB3_441 Depth=1
	s_mov_b64 s[18:19], 0
	s_mov_b64 s[20:21], s[4:5]
.LBB3_486:                              ;   Parent Loop BB3_441 Depth=1
                                        ; =>  This Inner Loop Header: Depth=2
	global_load_ubyte v6, v12, s[20:21]
	s_add_i32 s23, s23, -1
	s_waitcnt vmcnt(0)
	v_and_b32_e32 v11, 0xffff, v6
	v_lshlrev_b64 v[6:7], s18, v[11:12]
	s_add_u32 s18, s18, 8
	s_addc_u32 s19, s19, 0
	s_add_u32 s20, s20, 1
	s_addc_u32 s21, s21, 0
	s_cmp_lg_u32 s23, 0
	v_or_b32_e32 v25, v6, v25
	v_or_b32_e32 v26, v7, v26
	s_cbranch_scc1 .LBB3_486
.LBB3_487:                              ;   in Loop: Header=BB3_441 Depth=1
	s_cbranch_execz .LBB3_489
	s_branch .LBB3_490
.LBB3_488:                              ;   in Loop: Header=BB3_441 Depth=1
.LBB3_489:                              ;   in Loop: Header=BB3_441 Depth=1
	global_load_dwordx2 v[25:26], v12, s[4:5]
.LBB3_490:                              ;   in Loop: Header=BB3_441 Depth=1
	v_readfirstlane_b32 s4, v51
	v_mov_b32_e32 v6, 0
	v_mov_b32_e32 v7, 0
	v_cmp_eq_u32_e64 s4, s4, v51
	s_and_saveexec_b32 s5, s4
	s_cbranch_execz .LBB3_496
; %bb.491:                              ;   in Loop: Header=BB3_441 Depth=1
	global_load_dwordx2 v[29:30], v12, s[38:39] offset:24 glc dlc
	s_waitcnt vmcnt(0)
	buffer_gl1_inv
	buffer_gl0_inv
	s_clause 0x1
	global_load_dwordx2 v[6:7], v12, s[38:39] offset:40
	global_load_dwordx2 v[27:28], v12, s[38:39]
	s_mov_b32 s18, exec_lo
	s_waitcnt vmcnt(1)
	v_and_b32_e32 v7, v7, v30
	v_and_b32_e32 v6, v6, v29
	v_mul_lo_u32 v7, v7, 24
	v_mul_hi_u32 v11, v6, 24
	v_mul_lo_u32 v6, v6, 24
	v_add_nc_u32_e32 v7, v11, v7
	s_waitcnt vmcnt(0)
	v_add_co_u32 v6, vcc_lo, v27, v6
	v_add_co_ci_u32_e32 v7, vcc_lo, v28, v7, vcc_lo
	global_load_dwordx2 v[27:28], v[6:7], off glc dlc
	s_waitcnt vmcnt(0)
	global_atomic_cmpswap_x2 v[6:7], v12, v[27:30], s[38:39] offset:24 glc
	s_waitcnt vmcnt(0)
	buffer_gl1_inv
	buffer_gl0_inv
	v_cmpx_ne_u64_e64 v[6:7], v[29:30]
	s_cbranch_execz .LBB3_495
; %bb.492:                              ;   in Loop: Header=BB3_441 Depth=1
	s_mov_b32 s19, 0
	.p2align	6
.LBB3_493:                              ;   Parent Loop BB3_441 Depth=1
                                        ; =>  This Inner Loop Header: Depth=2
	s_sleep 1
	s_clause 0x1
	global_load_dwordx2 v[27:28], v12, s[38:39] offset:40
	global_load_dwordx2 v[32:33], v12, s[38:39]
	v_mov_b32_e32 v30, v7
	v_mov_b32_e32 v29, v6
	s_waitcnt vmcnt(1)
	v_and_b32_e32 v6, v27, v29
	v_and_b32_e32 v11, v28, v30
	s_waitcnt vmcnt(0)
	v_mad_u64_u32 v[6:7], null, v6, 24, v[32:33]
	v_mad_u64_u32 v[27:28], null, v11, 24, v[7:8]
	v_mov_b32_e32 v7, v27
	global_load_dwordx2 v[27:28], v[6:7], off glc dlc
	s_waitcnt vmcnt(0)
	global_atomic_cmpswap_x2 v[6:7], v12, v[27:30], s[38:39] offset:24 glc
	s_waitcnt vmcnt(0)
	buffer_gl1_inv
	buffer_gl0_inv
	v_cmp_eq_u64_e32 vcc_lo, v[6:7], v[29:30]
	s_or_b32 s19, vcc_lo, s19
	s_andn2_b32 exec_lo, exec_lo, s19
	s_cbranch_execnz .LBB3_493
; %bb.494:                              ;   in Loop: Header=BB3_441 Depth=1
	s_or_b32 exec_lo, exec_lo, s19
.LBB3_495:                              ;   in Loop: Header=BB3_441 Depth=1
	s_or_b32 exec_lo, exec_lo, s18
.LBB3_496:                              ;   in Loop: Header=BB3_441 Depth=1
	s_or_b32 exec_lo, exec_lo, s5
	s_clause 0x1
	global_load_dwordx2 v[32:33], v12, s[38:39] offset:40
	global_load_dwordx4 v[27:30], v12, s[38:39]
	v_readfirstlane_b32 s18, v6
	v_readfirstlane_b32 s19, v7
	s_mov_b32 s5, exec_lo
	s_waitcnt vmcnt(1)
	v_readfirstlane_b32 s20, v32
	v_readfirstlane_b32 s21, v33
	s_and_b64 s[20:21], s[18:19], s[20:21]
	s_mul_i32 s22, s21, 24
	s_mul_hi_u32 s23, s20, 24
	s_mul_i32 s24, s20, 24
	s_add_i32 s23, s23, s22
	s_waitcnt vmcnt(0)
	v_add_co_u32 v6, vcc_lo, v27, s24
	v_add_co_ci_u32_e32 v7, vcc_lo, s23, v28, vcc_lo
	s_and_saveexec_b32 s22, s4
	s_cbranch_execz .LBB3_498
; %bb.497:                              ;   in Loop: Header=BB3_441 Depth=1
	v_mov_b32_e32 v11, s5
	global_store_dwordx4 v[6:7], v[11:14], off offset:8
.LBB3_498:                              ;   in Loop: Header=BB3_441 Depth=1
	s_or_b32 exec_lo, exec_lo, s22
	s_lshl_b64 s[20:21], s[20:21], 12
	v_cmp_gt_u64_e64 vcc_lo, s[10:11], 56
	v_or_b32_e32 v32, v0, v31
	v_add_co_u32 v29, s5, v29, s20
	v_add_co_ci_u32_e64 v30, s5, s21, v30, s5
	s_lshl_b32 s5, s16, 2
	v_or_b32_e32 v11, 0, v1
	v_cndmask_b32_e32 v0, v32, v0, vcc_lo
	s_add_i32 s5, s5, 28
	v_readfirstlane_b32 s20, v29
	s_and_b32 s5, s5, 0x1e0
	v_cndmask_b32_e32 v1, v11, v1, vcc_lo
	v_readfirstlane_b32 s21, v30
	v_and_or_b32 v0, 0xffffff1f, v0, s5
	global_store_dwordx4 v50, v[0:3], s[20:21]
	global_store_dwordx4 v50, v[15:18], s[20:21] offset:16
	global_store_dwordx4 v50, v[19:22], s[20:21] offset:32
	global_store_dwordx4 v50, v[23:26], s[20:21] offset:48
	s_and_saveexec_b32 s5, s4
	s_cbranch_execz .LBB3_506
; %bb.499:                              ;   in Loop: Header=BB3_441 Depth=1
	s_clause 0x1
	global_load_dwordx2 v[19:20], v12, s[38:39] offset:32 glc dlc
	global_load_dwordx2 v[0:1], v12, s[38:39] offset:40
	v_mov_b32_e32 v17, s18
	v_mov_b32_e32 v18, s19
	s_waitcnt vmcnt(0)
	v_readfirstlane_b32 s20, v0
	v_readfirstlane_b32 s21, v1
	s_and_b64 s[20:21], s[20:21], s[18:19]
	s_mul_i32 s21, s21, 24
	s_mul_hi_u32 s22, s20, 24
	s_mul_i32 s20, s20, 24
	s_add_i32 s22, s22, s21
	v_add_co_u32 v15, vcc_lo, v27, s20
	v_add_co_ci_u32_e32 v16, vcc_lo, s22, v28, vcc_lo
	s_mov_b32 s20, exec_lo
	global_store_dwordx2 v[15:16], v[19:20], off
	s_waitcnt_vscnt null, 0x0
	global_atomic_cmpswap_x2 v[2:3], v12, v[17:20], s[38:39] offset:32 glc
	s_waitcnt vmcnt(0)
	v_cmpx_ne_u64_e64 v[2:3], v[19:20]
	s_cbranch_execz .LBB3_502
; %bb.500:                              ;   in Loop: Header=BB3_441 Depth=1
	s_mov_b32 s21, 0
.LBB3_501:                              ;   Parent Loop BB3_441 Depth=1
                                        ; =>  This Inner Loop Header: Depth=2
	v_mov_b32_e32 v0, s18
	v_mov_b32_e32 v1, s19
	s_sleep 1
	global_store_dwordx2 v[15:16], v[2:3], off
	s_waitcnt_vscnt null, 0x0
	global_atomic_cmpswap_x2 v[0:1], v12, v[0:3], s[38:39] offset:32 glc
	s_waitcnt vmcnt(0)
	v_cmp_eq_u64_e32 vcc_lo, v[0:1], v[2:3]
	v_mov_b32_e32 v3, v1
	v_mov_b32_e32 v2, v0
	s_or_b32 s21, vcc_lo, s21
	s_andn2_b32 exec_lo, exec_lo, s21
	s_cbranch_execnz .LBB3_501
.LBB3_502:                              ;   in Loop: Header=BB3_441 Depth=1
	s_or_b32 exec_lo, exec_lo, s20
	global_load_dwordx2 v[0:1], v12, s[38:39] offset:16
	s_mov_b32 s21, exec_lo
	s_mov_b32 s20, exec_lo
	v_mbcnt_lo_u32_b32 v2, s21, 0
	v_cmpx_eq_u32_e32 0, v2
	s_cbranch_execz .LBB3_504
; %bb.503:                              ;   in Loop: Header=BB3_441 Depth=1
	s_bcnt1_i32_b32 s21, s21
	v_mov_b32_e32 v11, s21
	s_waitcnt vmcnt(0)
	global_atomic_add_x2 v[0:1], v[11:12], off offset:8
.LBB3_504:                              ;   in Loop: Header=BB3_441 Depth=1
	s_or_b32 exec_lo, exec_lo, s20
	s_waitcnt vmcnt(0)
	global_load_dwordx2 v[2:3], v[0:1], off offset:16
	s_waitcnt vmcnt(0)
	v_cmp_eq_u64_e32 vcc_lo, 0, v[2:3]
	s_cbranch_vccnz .LBB3_506
; %bb.505:                              ;   in Loop: Header=BB3_441 Depth=1
	global_load_dword v11, v[0:1], off offset:24
	s_waitcnt vmcnt(0)
	v_and_b32_e32 v0, 0x7fffff, v11
	s_waitcnt_vscnt null, 0x0
	global_store_dwordx2 v[2:3], v[11:12], off
	v_readfirstlane_b32 m0, v0
	s_sendmsg sendmsg(MSG_INTERRUPT)
.LBB3_506:                              ;   in Loop: Header=BB3_441 Depth=1
	s_or_b32 exec_lo, exec_lo, s5
	v_add_co_u32 v0, vcc_lo, v29, v50
	v_add_co_ci_u32_e32 v1, vcc_lo, 0, v30, vcc_lo
	s_branch .LBB3_510
	.p2align	6
.LBB3_507:                              ;   in Loop: Header=BB3_510 Depth=2
	s_or_b32 exec_lo, exec_lo, s5
	v_readfirstlane_b32 s5, v2
	s_cmp_eq_u32 s5, 0
	s_cbranch_scc1 .LBB3_509
; %bb.508:                              ;   in Loop: Header=BB3_510 Depth=2
	s_sleep 1
	s_cbranch_execnz .LBB3_510
	s_branch .LBB3_512
	.p2align	6
.LBB3_509:                              ;   in Loop: Header=BB3_441 Depth=1
	s_branch .LBB3_512
.LBB3_510:                              ;   Parent Loop BB3_441 Depth=1
                                        ; =>  This Inner Loop Header: Depth=2
	v_mov_b32_e32 v2, 1
	s_and_saveexec_b32 s5, s4
	s_cbranch_execz .LBB3_507
; %bb.511:                              ;   in Loop: Header=BB3_510 Depth=2
	global_load_dword v2, v[6:7], off offset:20 glc dlc
	s_waitcnt vmcnt(0)
	buffer_gl1_inv
	buffer_gl0_inv
	v_and_b32_e32 v2, 1, v2
	s_branch .LBB3_507
.LBB3_512:                              ;   in Loop: Header=BB3_441 Depth=1
	global_load_dwordx4 v[0:3], v[0:1], off
	s_and_saveexec_b32 s5, s4
	s_cbranch_execz .LBB3_440
; %bb.513:                              ;   in Loop: Header=BB3_441 Depth=1
	s_clause 0x2
	global_load_dwordx2 v[2:3], v12, s[38:39] offset:40
	global_load_dwordx2 v[6:7], v12, s[38:39] offset:24 glc dlc
	global_load_dwordx2 v[17:18], v12, s[38:39]
	s_waitcnt vmcnt(2)
	v_add_co_u32 v11, vcc_lo, v2, 1
	v_add_co_ci_u32_e32 v19, vcc_lo, 0, v3, vcc_lo
	v_add_co_u32 v15, vcc_lo, v11, s18
	v_add_co_ci_u32_e32 v16, vcc_lo, s19, v19, vcc_lo
	v_cmp_eq_u64_e32 vcc_lo, 0, v[15:16]
	v_cndmask_b32_e32 v16, v16, v19, vcc_lo
	v_cndmask_b32_e32 v15, v15, v11, vcc_lo
	v_and_b32_e32 v3, v16, v3
	v_and_b32_e32 v2, v15, v2
	v_mul_lo_u32 v3, v3, 24
	v_mul_hi_u32 v11, v2, 24
	v_mul_lo_u32 v2, v2, 24
	v_add_nc_u32_e32 v3, v11, v3
	s_waitcnt vmcnt(0)
	v_add_co_u32 v2, vcc_lo, v17, v2
	v_mov_b32_e32 v17, v6
	v_add_co_ci_u32_e32 v3, vcc_lo, v18, v3, vcc_lo
	v_mov_b32_e32 v18, v7
	global_store_dwordx2 v[2:3], v[6:7], off
	s_waitcnt_vscnt null, 0x0
	global_atomic_cmpswap_x2 v[17:18], v12, v[15:18], s[38:39] offset:24 glc
	s_waitcnt vmcnt(0)
	v_cmp_ne_u64_e32 vcc_lo, v[17:18], v[6:7]
	s_and_b32 exec_lo, exec_lo, vcc_lo
	s_cbranch_execz .LBB3_440
; %bb.514:                              ;   in Loop: Header=BB3_441 Depth=1
	s_mov_b32 s4, 0
.LBB3_515:                              ;   Parent Loop BB3_441 Depth=1
                                        ; =>  This Inner Loop Header: Depth=2
	s_sleep 1
	global_store_dwordx2 v[2:3], v[17:18], off
	s_waitcnt_vscnt null, 0x0
	global_atomic_cmpswap_x2 v[6:7], v12, v[15:18], s[38:39] offset:24 glc
	s_waitcnt vmcnt(0)
	v_cmp_eq_u64_e32 vcc_lo, v[6:7], v[17:18]
	v_mov_b32_e32 v18, v7
	v_mov_b32_e32 v17, v6
	s_or_b32 s4, vcc_lo, s4
	s_andn2_b32 exec_lo, exec_lo, s4
	s_cbranch_execnz .LBB3_515
	s_branch .LBB3_440
.LBB3_516:
	s_branch .LBB3_545
.LBB3_517:
                                        ; implicit-def: $vgpr0_vgpr1
	s_cbranch_execz .LBB3_545
; %bb.518:
	v_readfirstlane_b32 s4, v51
	v_mov_b32_e32 v6, 0
	v_mov_b32_e32 v7, 0
	v_cmp_eq_u32_e64 s4, s4, v51
	s_and_saveexec_b32 s5, s4
	s_cbranch_execz .LBB3_524
; %bb.519:
	s_waitcnt vmcnt(0)
	v_mov_b32_e32 v0, 0
	s_mov_b32 s6, exec_lo
	global_load_dwordx2 v[13:14], v0, s[38:39] offset:24 glc dlc
	s_waitcnt vmcnt(0)
	buffer_gl1_inv
	buffer_gl0_inv
	s_clause 0x1
	global_load_dwordx2 v[1:2], v0, s[38:39] offset:40
	global_load_dwordx2 v[6:7], v0, s[38:39]
	s_waitcnt vmcnt(1)
	v_and_b32_e32 v2, v2, v14
	v_and_b32_e32 v1, v1, v13
	v_mul_lo_u32 v2, v2, 24
	v_mul_hi_u32 v3, v1, 24
	v_mul_lo_u32 v1, v1, 24
	v_add_nc_u32_e32 v2, v3, v2
	s_waitcnt vmcnt(0)
	v_add_co_u32 v1, vcc_lo, v6, v1
	v_add_co_ci_u32_e32 v2, vcc_lo, v7, v2, vcc_lo
	global_load_dwordx2 v[11:12], v[1:2], off glc dlc
	s_waitcnt vmcnt(0)
	global_atomic_cmpswap_x2 v[6:7], v0, v[11:14], s[38:39] offset:24 glc
	s_waitcnt vmcnt(0)
	buffer_gl1_inv
	buffer_gl0_inv
	v_cmpx_ne_u64_e64 v[6:7], v[13:14]
	s_cbranch_execz .LBB3_523
; %bb.520:
	s_mov_b32 s7, 0
	.p2align	6
.LBB3_521:                              ; =>This Inner Loop Header: Depth=1
	s_sleep 1
	s_clause 0x1
	global_load_dwordx2 v[1:2], v0, s[38:39] offset:40
	global_load_dwordx2 v[11:12], v0, s[38:39]
	v_mov_b32_e32 v14, v7
	v_mov_b32_e32 v13, v6
	s_waitcnt vmcnt(1)
	v_and_b32_e32 v1, v1, v13
	v_and_b32_e32 v2, v2, v14
	s_waitcnt vmcnt(0)
	v_mad_u64_u32 v[6:7], null, v1, 24, v[11:12]
	v_mov_b32_e32 v1, v7
	v_mad_u64_u32 v[1:2], null, v2, 24, v[1:2]
	v_mov_b32_e32 v7, v1
	global_load_dwordx2 v[11:12], v[6:7], off glc dlc
	s_waitcnt vmcnt(0)
	global_atomic_cmpswap_x2 v[6:7], v0, v[11:14], s[38:39] offset:24 glc
	s_waitcnt vmcnt(0)
	buffer_gl1_inv
	buffer_gl0_inv
	v_cmp_eq_u64_e32 vcc_lo, v[6:7], v[13:14]
	s_or_b32 s7, vcc_lo, s7
	s_andn2_b32 exec_lo, exec_lo, s7
	s_cbranch_execnz .LBB3_521
; %bb.522:
	s_or_b32 exec_lo, exec_lo, s7
.LBB3_523:
	s_or_b32 exec_lo, exec_lo, s6
.LBB3_524:
	s_or_b32 exec_lo, exec_lo, s5
	v_mov_b32_e32 v11, 0
	v_readfirstlane_b32 s6, v6
	v_readfirstlane_b32 s7, v7
	s_mov_b32 s5, exec_lo
	s_clause 0x1
	global_load_dwordx2 v[12:13], v11, s[38:39] offset:40
	global_load_dwordx4 v[0:3], v11, s[38:39]
	s_waitcnt vmcnt(1)
	v_readfirstlane_b32 s10, v12
	v_readfirstlane_b32 s11, v13
	s_and_b64 s[10:11], s[6:7], s[10:11]
	s_mul_i32 s16, s11, 24
	s_mul_hi_u32 s17, s10, 24
	s_mul_i32 s18, s10, 24
	s_add_i32 s17, s17, s16
	s_waitcnt vmcnt(0)
	v_add_co_u32 v6, vcc_lo, v0, s18
	v_add_co_ci_u32_e32 v7, vcc_lo, s17, v1, vcc_lo
	s_and_saveexec_b32 s16, s4
	s_cbranch_execz .LBB3_526
; %bb.525:
	v_mov_b32_e32 v12, s5
	v_mov_b32_e32 v13, v11
	;; [unrolled: 1-line block ×4, first 2 shown]
	global_store_dwordx4 v[6:7], v[12:15], off offset:8
.LBB3_526:
	s_or_b32 exec_lo, exec_lo, s16
	s_lshl_b64 s[10:11], s[10:11], 12
	s_mov_b32 s16, 0
	v_add_co_u32 v2, vcc_lo, v2, s10
	v_add_co_ci_u32_e32 v3, vcc_lo, s11, v3, vcc_lo
	s_mov_b32 s17, s16
	v_add_co_u32 v13, vcc_lo, v2, v50
	s_mov_b32 s18, s16
	s_mov_b32 s19, s16
	v_and_or_b32 v9, 0xffffff1f, v9, 32
	v_mov_b32_e32 v12, v11
	v_readfirstlane_b32 s10, v2
	v_readfirstlane_b32 s11, v3
	v_mov_b32_e32 v15, s16
	v_add_co_ci_u32_e32 v14, vcc_lo, 0, v3, vcc_lo
	v_mov_b32_e32 v16, s17
	v_mov_b32_e32 v17, s18
	;; [unrolled: 1-line block ×3, first 2 shown]
	global_store_dwordx4 v50, v[9:12], s[10:11]
	global_store_dwordx4 v50, v[15:18], s[10:11] offset:16
	global_store_dwordx4 v50, v[15:18], s[10:11] offset:32
	;; [unrolled: 1-line block ×3, first 2 shown]
	s_and_saveexec_b32 s5, s4
	s_cbranch_execz .LBB3_534
; %bb.527:
	v_mov_b32_e32 v11, 0
	v_mov_b32_e32 v15, s6
	;; [unrolled: 1-line block ×3, first 2 shown]
	s_clause 0x1
	global_load_dwordx2 v[17:18], v11, s[38:39] offset:32 glc dlc
	global_load_dwordx2 v[2:3], v11, s[38:39] offset:40
	s_waitcnt vmcnt(0)
	v_readfirstlane_b32 s10, v2
	v_readfirstlane_b32 s11, v3
	s_and_b64 s[10:11], s[10:11], s[6:7]
	s_mul_i32 s11, s11, 24
	s_mul_hi_u32 s16, s10, 24
	s_mul_i32 s10, s10, 24
	s_add_i32 s16, s16, s11
	v_add_co_u32 v9, vcc_lo, v0, s10
	v_add_co_ci_u32_e32 v10, vcc_lo, s16, v1, vcc_lo
	s_mov_b32 s10, exec_lo
	global_store_dwordx2 v[9:10], v[17:18], off
	s_waitcnt_vscnt null, 0x0
	global_atomic_cmpswap_x2 v[2:3], v11, v[15:18], s[38:39] offset:32 glc
	s_waitcnt vmcnt(0)
	v_cmpx_ne_u64_e64 v[2:3], v[17:18]
	s_cbranch_execz .LBB3_530
; %bb.528:
	s_mov_b32 s11, 0
.LBB3_529:                              ; =>This Inner Loop Header: Depth=1
	v_mov_b32_e32 v0, s6
	v_mov_b32_e32 v1, s7
	s_sleep 1
	global_store_dwordx2 v[9:10], v[2:3], off
	s_waitcnt_vscnt null, 0x0
	global_atomic_cmpswap_x2 v[0:1], v11, v[0:3], s[38:39] offset:32 glc
	s_waitcnt vmcnt(0)
	v_cmp_eq_u64_e32 vcc_lo, v[0:1], v[2:3]
	v_mov_b32_e32 v3, v1
	v_mov_b32_e32 v2, v0
	s_or_b32 s11, vcc_lo, s11
	s_andn2_b32 exec_lo, exec_lo, s11
	s_cbranch_execnz .LBB3_529
.LBB3_530:
	s_or_b32 exec_lo, exec_lo, s10
	v_mov_b32_e32 v3, 0
	s_mov_b32 s11, exec_lo
	s_mov_b32 s10, exec_lo
	v_mbcnt_lo_u32_b32 v2, s11, 0
	global_load_dwordx2 v[0:1], v3, s[38:39] offset:16
	v_cmpx_eq_u32_e32 0, v2
	s_cbranch_execz .LBB3_532
; %bb.531:
	s_bcnt1_i32_b32 s11, s11
	v_mov_b32_e32 v2, s11
	s_waitcnt vmcnt(0)
	global_atomic_add_x2 v[0:1], v[2:3], off offset:8
.LBB3_532:
	s_or_b32 exec_lo, exec_lo, s10
	s_waitcnt vmcnt(0)
	global_load_dwordx2 v[2:3], v[0:1], off offset:16
	s_waitcnt vmcnt(0)
	v_cmp_eq_u64_e32 vcc_lo, 0, v[2:3]
	s_cbranch_vccnz .LBB3_534
; %bb.533:
	global_load_dword v0, v[0:1], off offset:24
	v_mov_b32_e32 v1, 0
	s_waitcnt vmcnt(0)
	v_and_b32_e32 v9, 0x7fffff, v0
	s_waitcnt_vscnt null, 0x0
	global_store_dwordx2 v[2:3], v[0:1], off
	v_readfirstlane_b32 m0, v9
	s_sendmsg sendmsg(MSG_INTERRUPT)
.LBB3_534:
	s_or_b32 exec_lo, exec_lo, s5
	s_branch .LBB3_538
	.p2align	6
.LBB3_535:                              ;   in Loop: Header=BB3_538 Depth=1
	s_or_b32 exec_lo, exec_lo, s5
	v_readfirstlane_b32 s5, v0
	s_cmp_eq_u32 s5, 0
	s_cbranch_scc1 .LBB3_537
; %bb.536:                              ;   in Loop: Header=BB3_538 Depth=1
	s_sleep 1
	s_cbranch_execnz .LBB3_538
	s_branch .LBB3_540
	.p2align	6
.LBB3_537:
	s_branch .LBB3_540
.LBB3_538:                              ; =>This Inner Loop Header: Depth=1
	v_mov_b32_e32 v0, 1
	s_and_saveexec_b32 s5, s4
	s_cbranch_execz .LBB3_535
; %bb.539:                              ;   in Loop: Header=BB3_538 Depth=1
	global_load_dword v0, v[6:7], off offset:20 glc dlc
	s_waitcnt vmcnt(0)
	buffer_gl1_inv
	buffer_gl0_inv
	v_and_b32_e32 v0, 1, v0
	s_branch .LBB3_535
.LBB3_540:
	global_load_dwordx2 v[0:1], v[13:14], off
	s_and_saveexec_b32 s5, s4
	s_cbranch_execz .LBB3_544
; %bb.541:
	v_mov_b32_e32 v6, 0
	s_clause 0x2
	global_load_dwordx2 v[2:3], v6, s[38:39] offset:40
	global_load_dwordx2 v[13:14], v6, s[38:39] offset:24 glc dlc
	global_load_dwordx2 v[11:12], v6, s[38:39]
	s_waitcnt vmcnt(2)
	v_add_co_u32 v7, vcc_lo, v2, 1
	v_add_co_ci_u32_e32 v15, vcc_lo, 0, v3, vcc_lo
	v_add_co_u32 v9, vcc_lo, v7, s6
	v_add_co_ci_u32_e32 v10, vcc_lo, s7, v15, vcc_lo
	v_cmp_eq_u64_e32 vcc_lo, 0, v[9:10]
	v_cndmask_b32_e32 v10, v10, v15, vcc_lo
	v_cndmask_b32_e32 v9, v9, v7, vcc_lo
	v_and_b32_e32 v3, v10, v3
	v_and_b32_e32 v2, v9, v2
	v_mul_lo_u32 v3, v3, 24
	v_mul_hi_u32 v7, v2, 24
	v_mul_lo_u32 v2, v2, 24
	v_add_nc_u32_e32 v3, v7, v3
	s_waitcnt vmcnt(0)
	v_add_co_u32 v2, vcc_lo, v11, v2
	v_mov_b32_e32 v11, v13
	v_add_co_ci_u32_e32 v3, vcc_lo, v12, v3, vcc_lo
	v_mov_b32_e32 v12, v14
	global_store_dwordx2 v[2:3], v[13:14], off
	s_waitcnt_vscnt null, 0x0
	global_atomic_cmpswap_x2 v[11:12], v6, v[9:12], s[38:39] offset:24 glc
	s_waitcnt vmcnt(0)
	v_cmp_ne_u64_e32 vcc_lo, v[11:12], v[13:14]
	s_and_b32 exec_lo, exec_lo, vcc_lo
	s_cbranch_execz .LBB3_544
; %bb.542:
	s_mov_b32 s4, 0
.LBB3_543:                              ; =>This Inner Loop Header: Depth=1
	s_sleep 1
	global_store_dwordx2 v[2:3], v[11:12], off
	s_waitcnt_vscnt null, 0x0
	global_atomic_cmpswap_x2 v[13:14], v6, v[9:12], s[38:39] offset:24 glc
	s_waitcnt vmcnt(0)
	v_cmp_eq_u64_e32 vcc_lo, v[13:14], v[11:12]
	v_mov_b32_e32 v11, v13
	v_mov_b32_e32 v12, v14
	s_or_b32 s4, vcc_lo, s4
	s_andn2_b32 exec_lo, exec_lo, s4
	s_cbranch_execnz .LBB3_543
.LBB3_544:
	s_or_b32 exec_lo, exec_lo, s5
.LBB3_545:
	s_getpc_b64 s[6:7]
	s_add_u32 s6, s6, .str.1@rel32@lo+4
	s_addc_u32 s7, s7, .str.1@rel32@hi+12
	s_cmp_lg_u64 s[6:7], 0
	s_cbranch_scc0 .LBB3_624
; %bb.546:
	s_waitcnt vmcnt(0)
	v_and_b32_e32 v13, -3, v0
	v_mov_b32_e32 v14, v1
	v_mov_b32_e32 v10, 0
	;; [unrolled: 1-line block ×4, first 2 shown]
	s_mov_b64 s[10:11], 0x4f
	s_branch .LBB3_548
.LBB3_547:                              ;   in Loop: Header=BB3_548 Depth=1
	s_or_b32 exec_lo, exec_lo, s5
	s_sub_u32 s10, s10, s16
	s_subb_u32 s11, s11, s17
	s_add_u32 s6, s6, s16
	s_addc_u32 s7, s7, s17
	s_cmp_lg_u64 s[10:11], 0
	s_cbranch_scc0 .LBB3_623
.LBB3_548:                              ; =>This Loop Header: Depth=1
                                        ;     Child Loop BB3_557 Depth 2
                                        ;     Child Loop BB3_553 Depth 2
	;; [unrolled: 1-line block ×11, first 2 shown]
	v_cmp_lt_u64_e64 s4, s[10:11], 56
	v_cmp_gt_u64_e64 s5, s[10:11], 7
                                        ; implicit-def: $sgpr22
	s_and_b32 s4, s4, exec_lo
	s_cselect_b32 s17, s11, 0
	s_cselect_b32 s16, s10, 56
	s_and_b32 vcc_lo, exec_lo, s5
	s_mov_b32 s4, -1
	s_cbranch_vccz .LBB3_555
; %bb.549:                              ;   in Loop: Header=BB3_548 Depth=1
	s_andn2_b32 vcc_lo, exec_lo, s4
	s_mov_b64 s[4:5], s[6:7]
	s_cbranch_vccz .LBB3_559
.LBB3_550:                              ;   in Loop: Header=BB3_548 Depth=1
	s_cmp_gt_u32 s22, 7
	s_cbranch_scc1 .LBB3_560
.LBB3_551:                              ;   in Loop: Header=BB3_548 Depth=1
	v_mov_b32_e32 v17, 0
	v_mov_b32_e32 v18, 0
	s_cmp_eq_u32 s22, 0
	s_cbranch_scc1 .LBB3_554
; %bb.552:                              ;   in Loop: Header=BB3_548 Depth=1
	s_mov_b64 s[18:19], 0
	s_mov_b64 s[20:21], 0
.LBB3_553:                              ;   Parent Loop BB3_548 Depth=1
                                        ; =>  This Inner Loop Header: Depth=2
	s_add_u32 s24, s4, s20
	s_addc_u32 s25, s5, s21
	s_add_u32 s20, s20, 1
	global_load_ubyte v2, v10, s[24:25]
	s_addc_u32 s21, s21, 0
	s_waitcnt vmcnt(0)
	v_and_b32_e32 v9, 0xffff, v2
	v_lshlrev_b64 v[2:3], s18, v[9:10]
	s_add_u32 s18, s18, 8
	s_addc_u32 s19, s19, 0
	s_cmp_lg_u32 s22, s20
	v_or_b32_e32 v17, v2, v17
	v_or_b32_e32 v18, v3, v18
	s_cbranch_scc1 .LBB3_553
.LBB3_554:                              ;   in Loop: Header=BB3_548 Depth=1
	s_mov_b32 s23, 0
	s_cbranch_execz .LBB3_561
	s_branch .LBB3_562
.LBB3_555:                              ;   in Loop: Header=BB3_548 Depth=1
	s_waitcnt vmcnt(0)
	v_mov_b32_e32 v15, 0
	v_mov_b32_e32 v16, 0
	s_cmp_eq_u64 s[10:11], 0
	s_mov_b64 s[4:5], 0
	s_cbranch_scc1 .LBB3_558
; %bb.556:                              ;   in Loop: Header=BB3_548 Depth=1
	v_mov_b32_e32 v15, 0
	v_mov_b32_e32 v16, 0
	s_lshl_b64 s[18:19], s[16:17], 3
	s_mov_b64 s[20:21], s[6:7]
.LBB3_557:                              ;   Parent Loop BB3_548 Depth=1
                                        ; =>  This Inner Loop Header: Depth=2
	global_load_ubyte v2, v10, s[20:21]
	s_waitcnt vmcnt(0)
	v_and_b32_e32 v9, 0xffff, v2
	v_lshlrev_b64 v[2:3], s4, v[9:10]
	s_add_u32 s4, s4, 8
	s_addc_u32 s5, s5, 0
	s_add_u32 s20, s20, 1
	s_addc_u32 s21, s21, 0
	s_cmp_lg_u32 s18, s4
	v_or_b32_e32 v15, v2, v15
	v_or_b32_e32 v16, v3, v16
	s_cbranch_scc1 .LBB3_557
.LBB3_558:                              ;   in Loop: Header=BB3_548 Depth=1
	s_mov_b32 s22, 0
	s_mov_b64 s[4:5], s[6:7]
	s_cbranch_execnz .LBB3_550
.LBB3_559:                              ;   in Loop: Header=BB3_548 Depth=1
	global_load_dwordx2 v[15:16], v10, s[6:7]
	s_add_i32 s22, s16, -8
	s_add_u32 s4, s6, 8
	s_addc_u32 s5, s7, 0
	s_cmp_gt_u32 s22, 7
	s_cbranch_scc0 .LBB3_551
.LBB3_560:                              ;   in Loop: Header=BB3_548 Depth=1
                                        ; implicit-def: $vgpr17_vgpr18
                                        ; implicit-def: $sgpr23
.LBB3_561:                              ;   in Loop: Header=BB3_548 Depth=1
	global_load_dwordx2 v[17:18], v10, s[4:5]
	s_add_i32 s23, s22, -8
	s_add_u32 s4, s4, 8
	s_addc_u32 s5, s5, 0
.LBB3_562:                              ;   in Loop: Header=BB3_548 Depth=1
	s_cmp_gt_u32 s23, 7
	s_cbranch_scc1 .LBB3_567
; %bb.563:                              ;   in Loop: Header=BB3_548 Depth=1
	v_mov_b32_e32 v19, 0
	v_mov_b32_e32 v20, 0
	s_cmp_eq_u32 s23, 0
	s_cbranch_scc1 .LBB3_566
; %bb.564:                              ;   in Loop: Header=BB3_548 Depth=1
	s_mov_b64 s[18:19], 0
	s_mov_b64 s[20:21], 0
.LBB3_565:                              ;   Parent Loop BB3_548 Depth=1
                                        ; =>  This Inner Loop Header: Depth=2
	s_add_u32 s24, s4, s20
	s_addc_u32 s25, s5, s21
	s_add_u32 s20, s20, 1
	global_load_ubyte v2, v10, s[24:25]
	s_addc_u32 s21, s21, 0
	s_waitcnt vmcnt(0)
	v_and_b32_e32 v9, 0xffff, v2
	v_lshlrev_b64 v[2:3], s18, v[9:10]
	s_add_u32 s18, s18, 8
	s_addc_u32 s19, s19, 0
	s_cmp_lg_u32 s23, s20
	v_or_b32_e32 v19, v2, v19
	v_or_b32_e32 v20, v3, v20
	s_cbranch_scc1 .LBB3_565
.LBB3_566:                              ;   in Loop: Header=BB3_548 Depth=1
	s_mov_b32 s22, 0
	s_cbranch_execz .LBB3_568
	s_branch .LBB3_569
.LBB3_567:                              ;   in Loop: Header=BB3_548 Depth=1
                                        ; implicit-def: $sgpr22
.LBB3_568:                              ;   in Loop: Header=BB3_548 Depth=1
	global_load_dwordx2 v[19:20], v10, s[4:5]
	s_add_i32 s22, s23, -8
	s_add_u32 s4, s4, 8
	s_addc_u32 s5, s5, 0
.LBB3_569:                              ;   in Loop: Header=BB3_548 Depth=1
	s_cmp_gt_u32 s22, 7
	s_cbranch_scc1 .LBB3_574
; %bb.570:                              ;   in Loop: Header=BB3_548 Depth=1
	v_mov_b32_e32 v21, 0
	v_mov_b32_e32 v22, 0
	s_cmp_eq_u32 s22, 0
	s_cbranch_scc1 .LBB3_573
; %bb.571:                              ;   in Loop: Header=BB3_548 Depth=1
	s_mov_b64 s[18:19], 0
	s_mov_b64 s[20:21], 0
.LBB3_572:                              ;   Parent Loop BB3_548 Depth=1
                                        ; =>  This Inner Loop Header: Depth=2
	s_add_u32 s24, s4, s20
	s_addc_u32 s25, s5, s21
	s_add_u32 s20, s20, 1
	global_load_ubyte v2, v10, s[24:25]
	s_addc_u32 s21, s21, 0
	s_waitcnt vmcnt(0)
	v_and_b32_e32 v9, 0xffff, v2
	v_lshlrev_b64 v[2:3], s18, v[9:10]
	s_add_u32 s18, s18, 8
	s_addc_u32 s19, s19, 0
	s_cmp_lg_u32 s22, s20
	v_or_b32_e32 v21, v2, v21
	v_or_b32_e32 v22, v3, v22
	s_cbranch_scc1 .LBB3_572
.LBB3_573:                              ;   in Loop: Header=BB3_548 Depth=1
	s_mov_b32 s23, 0
	s_cbranch_execz .LBB3_575
	s_branch .LBB3_576
.LBB3_574:                              ;   in Loop: Header=BB3_548 Depth=1
                                        ; implicit-def: $vgpr21_vgpr22
                                        ; implicit-def: $sgpr23
.LBB3_575:                              ;   in Loop: Header=BB3_548 Depth=1
	global_load_dwordx2 v[21:22], v10, s[4:5]
	s_add_i32 s23, s22, -8
	s_add_u32 s4, s4, 8
	s_addc_u32 s5, s5, 0
.LBB3_576:                              ;   in Loop: Header=BB3_548 Depth=1
	s_cmp_gt_u32 s23, 7
	s_cbranch_scc1 .LBB3_581
; %bb.577:                              ;   in Loop: Header=BB3_548 Depth=1
	v_mov_b32_e32 v23, 0
	v_mov_b32_e32 v24, 0
	s_cmp_eq_u32 s23, 0
	s_cbranch_scc1 .LBB3_580
; %bb.578:                              ;   in Loop: Header=BB3_548 Depth=1
	s_mov_b64 s[18:19], 0
	s_mov_b64 s[20:21], 0
.LBB3_579:                              ;   Parent Loop BB3_548 Depth=1
                                        ; =>  This Inner Loop Header: Depth=2
	s_add_u32 s24, s4, s20
	s_addc_u32 s25, s5, s21
	s_add_u32 s20, s20, 1
	global_load_ubyte v2, v10, s[24:25]
	s_addc_u32 s21, s21, 0
	s_waitcnt vmcnt(0)
	v_and_b32_e32 v9, 0xffff, v2
	v_lshlrev_b64 v[2:3], s18, v[9:10]
	s_add_u32 s18, s18, 8
	s_addc_u32 s19, s19, 0
	s_cmp_lg_u32 s23, s20
	v_or_b32_e32 v23, v2, v23
	v_or_b32_e32 v24, v3, v24
	s_cbranch_scc1 .LBB3_579
.LBB3_580:                              ;   in Loop: Header=BB3_548 Depth=1
	s_mov_b32 s22, 0
	s_cbranch_execz .LBB3_582
	s_branch .LBB3_583
.LBB3_581:                              ;   in Loop: Header=BB3_548 Depth=1
                                        ; implicit-def: $sgpr22
.LBB3_582:                              ;   in Loop: Header=BB3_548 Depth=1
	global_load_dwordx2 v[23:24], v10, s[4:5]
	s_add_i32 s22, s23, -8
	s_add_u32 s4, s4, 8
	s_addc_u32 s5, s5, 0
.LBB3_583:                              ;   in Loop: Header=BB3_548 Depth=1
	s_cmp_gt_u32 s22, 7
	s_cbranch_scc1 .LBB3_588
; %bb.584:                              ;   in Loop: Header=BB3_548 Depth=1
	v_mov_b32_e32 v25, 0
	v_mov_b32_e32 v26, 0
	s_cmp_eq_u32 s22, 0
	s_cbranch_scc1 .LBB3_587
; %bb.585:                              ;   in Loop: Header=BB3_548 Depth=1
	s_mov_b64 s[18:19], 0
	s_mov_b64 s[20:21], 0
.LBB3_586:                              ;   Parent Loop BB3_548 Depth=1
                                        ; =>  This Inner Loop Header: Depth=2
	s_add_u32 s24, s4, s20
	s_addc_u32 s25, s5, s21
	s_add_u32 s20, s20, 1
	global_load_ubyte v2, v10, s[24:25]
	s_addc_u32 s21, s21, 0
	s_waitcnt vmcnt(0)
	v_and_b32_e32 v9, 0xffff, v2
	v_lshlrev_b64 v[2:3], s18, v[9:10]
	s_add_u32 s18, s18, 8
	s_addc_u32 s19, s19, 0
	s_cmp_lg_u32 s22, s20
	v_or_b32_e32 v25, v2, v25
	v_or_b32_e32 v26, v3, v26
	s_cbranch_scc1 .LBB3_586
.LBB3_587:                              ;   in Loop: Header=BB3_548 Depth=1
	s_mov_b32 s23, 0
	s_cbranch_execz .LBB3_589
	s_branch .LBB3_590
.LBB3_588:                              ;   in Loop: Header=BB3_548 Depth=1
                                        ; implicit-def: $vgpr25_vgpr26
                                        ; implicit-def: $sgpr23
.LBB3_589:                              ;   in Loop: Header=BB3_548 Depth=1
	global_load_dwordx2 v[25:26], v10, s[4:5]
	s_add_i32 s23, s22, -8
	s_add_u32 s4, s4, 8
	s_addc_u32 s5, s5, 0
.LBB3_590:                              ;   in Loop: Header=BB3_548 Depth=1
	s_cmp_gt_u32 s23, 7
	s_cbranch_scc1 .LBB3_595
; %bb.591:                              ;   in Loop: Header=BB3_548 Depth=1
	v_mov_b32_e32 v27, 0
	v_mov_b32_e32 v28, 0
	s_cmp_eq_u32 s23, 0
	s_cbranch_scc1 .LBB3_594
; %bb.592:                              ;   in Loop: Header=BB3_548 Depth=1
	s_mov_b64 s[18:19], 0
	s_mov_b64 s[20:21], s[4:5]
.LBB3_593:                              ;   Parent Loop BB3_548 Depth=1
                                        ; =>  This Inner Loop Header: Depth=2
	global_load_ubyte v2, v10, s[20:21]
	s_add_i32 s23, s23, -1
	s_waitcnt vmcnt(0)
	v_and_b32_e32 v9, 0xffff, v2
	v_lshlrev_b64 v[2:3], s18, v[9:10]
	s_add_u32 s18, s18, 8
	s_addc_u32 s19, s19, 0
	s_add_u32 s20, s20, 1
	s_addc_u32 s21, s21, 0
	s_cmp_lg_u32 s23, 0
	v_or_b32_e32 v27, v2, v27
	v_or_b32_e32 v28, v3, v28
	s_cbranch_scc1 .LBB3_593
.LBB3_594:                              ;   in Loop: Header=BB3_548 Depth=1
	s_cbranch_execz .LBB3_596
	s_branch .LBB3_597
.LBB3_595:                              ;   in Loop: Header=BB3_548 Depth=1
.LBB3_596:                              ;   in Loop: Header=BB3_548 Depth=1
	global_load_dwordx2 v[27:28], v10, s[4:5]
.LBB3_597:                              ;   in Loop: Header=BB3_548 Depth=1
	v_readfirstlane_b32 s4, v51
	v_mov_b32_e32 v2, 0
	v_mov_b32_e32 v3, 0
	v_cmp_eq_u32_e64 s4, s4, v51
	s_and_saveexec_b32 s5, s4
	s_cbranch_execz .LBB3_603
; %bb.598:                              ;   in Loop: Header=BB3_548 Depth=1
	global_load_dwordx2 v[31:32], v10, s[38:39] offset:24 glc dlc
	s_waitcnt vmcnt(0)
	buffer_gl1_inv
	buffer_gl0_inv
	s_clause 0x1
	global_load_dwordx2 v[2:3], v10, s[38:39] offset:40
	global_load_dwordx2 v[6:7], v10, s[38:39]
	s_mov_b32 s18, exec_lo
	s_waitcnt vmcnt(1)
	v_and_b32_e32 v3, v3, v32
	v_and_b32_e32 v2, v2, v31
	v_mul_lo_u32 v3, v3, 24
	v_mul_hi_u32 v9, v2, 24
	v_mul_lo_u32 v2, v2, 24
	v_add_nc_u32_e32 v3, v9, v3
	s_waitcnt vmcnt(0)
	v_add_co_u32 v2, vcc_lo, v6, v2
	v_add_co_ci_u32_e32 v3, vcc_lo, v7, v3, vcc_lo
	global_load_dwordx2 v[29:30], v[2:3], off glc dlc
	s_waitcnt vmcnt(0)
	global_atomic_cmpswap_x2 v[2:3], v10, v[29:32], s[38:39] offset:24 glc
	s_waitcnt vmcnt(0)
	buffer_gl1_inv
	buffer_gl0_inv
	v_cmpx_ne_u64_e64 v[2:3], v[31:32]
	s_cbranch_execz .LBB3_602
; %bb.599:                              ;   in Loop: Header=BB3_548 Depth=1
	s_mov_b32 s19, 0
	.p2align	6
.LBB3_600:                              ;   Parent Loop BB3_548 Depth=1
                                        ; =>  This Inner Loop Header: Depth=2
	s_sleep 1
	s_clause 0x1
	global_load_dwordx2 v[6:7], v10, s[38:39] offset:40
	global_load_dwordx2 v[29:30], v10, s[38:39]
	v_mov_b32_e32 v32, v3
	v_mov_b32_e32 v31, v2
	s_waitcnt vmcnt(1)
	v_and_b32_e32 v2, v6, v31
	v_and_b32_e32 v6, v7, v32
	s_waitcnt vmcnt(0)
	v_mad_u64_u32 v[2:3], null, v2, 24, v[29:30]
	v_mad_u64_u32 v[6:7], null, v6, 24, v[3:4]
	v_mov_b32_e32 v3, v6
	global_load_dwordx2 v[29:30], v[2:3], off glc dlc
	s_waitcnt vmcnt(0)
	global_atomic_cmpswap_x2 v[2:3], v10, v[29:32], s[38:39] offset:24 glc
	s_waitcnt vmcnt(0)
	buffer_gl1_inv
	buffer_gl0_inv
	v_cmp_eq_u64_e32 vcc_lo, v[2:3], v[31:32]
	s_or_b32 s19, vcc_lo, s19
	s_andn2_b32 exec_lo, exec_lo, s19
	s_cbranch_execnz .LBB3_600
; %bb.601:                              ;   in Loop: Header=BB3_548 Depth=1
	s_or_b32 exec_lo, exec_lo, s19
.LBB3_602:                              ;   in Loop: Header=BB3_548 Depth=1
	s_or_b32 exec_lo, exec_lo, s18
.LBB3_603:                              ;   in Loop: Header=BB3_548 Depth=1
	s_or_b32 exec_lo, exec_lo, s5
	s_clause 0x1
	global_load_dwordx2 v[6:7], v10, s[38:39] offset:40
	global_load_dwordx4 v[29:32], v10, s[38:39]
	v_readfirstlane_b32 s18, v2
	v_readfirstlane_b32 s19, v3
	s_mov_b32 s5, exec_lo
	s_waitcnt vmcnt(1)
	v_readfirstlane_b32 s20, v6
	v_readfirstlane_b32 s21, v7
	s_and_b64 s[20:21], s[18:19], s[20:21]
	s_mul_i32 s22, s21, 24
	s_mul_hi_u32 s23, s20, 24
	s_mul_i32 s24, s20, 24
	s_add_i32 s23, s23, s22
	s_waitcnt vmcnt(0)
	v_add_co_u32 v2, vcc_lo, v29, s24
	v_add_co_ci_u32_e32 v3, vcc_lo, s23, v30, vcc_lo
	s_and_saveexec_b32 s22, s4
	s_cbranch_execz .LBB3_605
; %bb.604:                              ;   in Loop: Header=BB3_548 Depth=1
	v_mov_b32_e32 v9, s5
	global_store_dwordx4 v[2:3], v[9:12], off offset:8
.LBB3_605:                              ;   in Loop: Header=BB3_548 Depth=1
	s_or_b32 exec_lo, exec_lo, s22
	s_lshl_b64 s[20:21], s[20:21], 12
	v_or_b32_e32 v6, 2, v13
	v_add_co_u32 v31, vcc_lo, v31, s20
	v_add_co_ci_u32_e32 v32, vcc_lo, s21, v32, vcc_lo
	v_cmp_gt_u64_e64 vcc_lo, s[10:11], 56
	s_lshl_b32 s5, s16, 2
	v_readfirstlane_b32 s20, v31
	s_add_i32 s5, s5, 28
	v_readfirstlane_b32 s21, v32
	s_and_b32 s5, s5, 0x1e0
	v_cndmask_b32_e32 v6, v6, v13, vcc_lo
	v_and_or_b32 v13, 0xffffff1f, v6, s5
	global_store_dwordx4 v50, v[17:20], s[20:21] offset:16
	global_store_dwordx4 v50, v[13:16], s[20:21]
	global_store_dwordx4 v50, v[21:24], s[20:21] offset:32
	global_store_dwordx4 v50, v[25:28], s[20:21] offset:48
	s_and_saveexec_b32 s5, s4
	s_cbranch_execz .LBB3_613
; %bb.606:                              ;   in Loop: Header=BB3_548 Depth=1
	s_clause 0x1
	global_load_dwordx2 v[17:18], v10, s[38:39] offset:32 glc dlc
	global_load_dwordx2 v[6:7], v10, s[38:39] offset:40
	v_mov_b32_e32 v15, s18
	v_mov_b32_e32 v16, s19
	s_waitcnt vmcnt(0)
	v_readfirstlane_b32 s20, v6
	v_readfirstlane_b32 s21, v7
	s_and_b64 s[20:21], s[20:21], s[18:19]
	s_mul_i32 s21, s21, 24
	s_mul_hi_u32 s22, s20, 24
	s_mul_i32 s20, s20, 24
	s_add_i32 s22, s22, s21
	v_add_co_u32 v6, vcc_lo, v29, s20
	v_add_co_ci_u32_e32 v7, vcc_lo, s22, v30, vcc_lo
	s_mov_b32 s20, exec_lo
	global_store_dwordx2 v[6:7], v[17:18], off
	s_waitcnt_vscnt null, 0x0
	global_atomic_cmpswap_x2 v[15:16], v10, v[15:18], s[38:39] offset:32 glc
	s_waitcnt vmcnt(0)
	v_cmpx_ne_u64_e64 v[15:16], v[17:18]
	s_cbranch_execz .LBB3_609
; %bb.607:                              ;   in Loop: Header=BB3_548 Depth=1
	s_mov_b32 s21, 0
.LBB3_608:                              ;   Parent Loop BB3_548 Depth=1
                                        ; =>  This Inner Loop Header: Depth=2
	v_mov_b32_e32 v13, s18
	v_mov_b32_e32 v14, s19
	s_sleep 1
	global_store_dwordx2 v[6:7], v[15:16], off
	s_waitcnt_vscnt null, 0x0
	global_atomic_cmpswap_x2 v[13:14], v10, v[13:16], s[38:39] offset:32 glc
	s_waitcnt vmcnt(0)
	v_cmp_eq_u64_e32 vcc_lo, v[13:14], v[15:16]
	v_mov_b32_e32 v16, v14
	v_mov_b32_e32 v15, v13
	s_or_b32 s21, vcc_lo, s21
	s_andn2_b32 exec_lo, exec_lo, s21
	s_cbranch_execnz .LBB3_608
.LBB3_609:                              ;   in Loop: Header=BB3_548 Depth=1
	s_or_b32 exec_lo, exec_lo, s20
	global_load_dwordx2 v[6:7], v10, s[38:39] offset:16
	s_mov_b32 s21, exec_lo
	s_mov_b32 s20, exec_lo
	v_mbcnt_lo_u32_b32 v9, s21, 0
	v_cmpx_eq_u32_e32 0, v9
	s_cbranch_execz .LBB3_611
; %bb.610:                              ;   in Loop: Header=BB3_548 Depth=1
	s_bcnt1_i32_b32 s21, s21
	v_mov_b32_e32 v9, s21
	s_waitcnt vmcnt(0)
	global_atomic_add_x2 v[6:7], v[9:10], off offset:8
.LBB3_611:                              ;   in Loop: Header=BB3_548 Depth=1
	s_or_b32 exec_lo, exec_lo, s20
	s_waitcnt vmcnt(0)
	global_load_dwordx2 v[13:14], v[6:7], off offset:16
	s_waitcnt vmcnt(0)
	v_cmp_eq_u64_e32 vcc_lo, 0, v[13:14]
	s_cbranch_vccnz .LBB3_613
; %bb.612:                              ;   in Loop: Header=BB3_548 Depth=1
	global_load_dword v9, v[6:7], off offset:24
	s_waitcnt vmcnt(0)
	v_and_b32_e32 v6, 0x7fffff, v9
	s_waitcnt_vscnt null, 0x0
	global_store_dwordx2 v[13:14], v[9:10], off
	v_readfirstlane_b32 m0, v6
	s_sendmsg sendmsg(MSG_INTERRUPT)
.LBB3_613:                              ;   in Loop: Header=BB3_548 Depth=1
	s_or_b32 exec_lo, exec_lo, s5
	v_add_co_u32 v6, vcc_lo, v31, v50
	v_add_co_ci_u32_e32 v7, vcc_lo, 0, v32, vcc_lo
	s_branch .LBB3_617
	.p2align	6
.LBB3_614:                              ;   in Loop: Header=BB3_617 Depth=2
	s_or_b32 exec_lo, exec_lo, s5
	v_readfirstlane_b32 s5, v9
	s_cmp_eq_u32 s5, 0
	s_cbranch_scc1 .LBB3_616
; %bb.615:                              ;   in Loop: Header=BB3_617 Depth=2
	s_sleep 1
	s_cbranch_execnz .LBB3_617
	s_branch .LBB3_619
	.p2align	6
.LBB3_616:                              ;   in Loop: Header=BB3_548 Depth=1
	s_branch .LBB3_619
.LBB3_617:                              ;   Parent Loop BB3_548 Depth=1
                                        ; =>  This Inner Loop Header: Depth=2
	v_mov_b32_e32 v9, 1
	s_and_saveexec_b32 s5, s4
	s_cbranch_execz .LBB3_614
; %bb.618:                              ;   in Loop: Header=BB3_617 Depth=2
	global_load_dword v9, v[2:3], off offset:20 glc dlc
	s_waitcnt vmcnt(0)
	buffer_gl1_inv
	buffer_gl0_inv
	v_and_b32_e32 v9, 1, v9
	s_branch .LBB3_614
.LBB3_619:                              ;   in Loop: Header=BB3_548 Depth=1
	global_load_dwordx4 v[13:16], v[6:7], off
	s_and_saveexec_b32 s5, s4
	s_cbranch_execz .LBB3_547
; %bb.620:                              ;   in Loop: Header=BB3_548 Depth=1
	s_clause 0x2
	global_load_dwordx2 v[2:3], v10, s[38:39] offset:40
	global_load_dwordx2 v[6:7], v10, s[38:39] offset:24 glc dlc
	global_load_dwordx2 v[17:18], v10, s[38:39]
	s_waitcnt vmcnt(2)
	v_add_co_u32 v9, vcc_lo, v2, 1
	v_add_co_ci_u32_e32 v19, vcc_lo, 0, v3, vcc_lo
	v_add_co_u32 v15, vcc_lo, v9, s18
	v_add_co_ci_u32_e32 v16, vcc_lo, s19, v19, vcc_lo
	v_cmp_eq_u64_e32 vcc_lo, 0, v[15:16]
	v_cndmask_b32_e32 v16, v16, v19, vcc_lo
	v_cndmask_b32_e32 v15, v15, v9, vcc_lo
	v_and_b32_e32 v3, v16, v3
	v_and_b32_e32 v2, v15, v2
	v_mul_lo_u32 v3, v3, 24
	v_mul_hi_u32 v9, v2, 24
	v_mul_lo_u32 v2, v2, 24
	v_add_nc_u32_e32 v3, v9, v3
	s_waitcnt vmcnt(0)
	v_add_co_u32 v2, vcc_lo, v17, v2
	v_mov_b32_e32 v17, v6
	v_add_co_ci_u32_e32 v3, vcc_lo, v18, v3, vcc_lo
	v_mov_b32_e32 v18, v7
	global_store_dwordx2 v[2:3], v[6:7], off
	s_waitcnt_vscnt null, 0x0
	global_atomic_cmpswap_x2 v[17:18], v10, v[15:18], s[38:39] offset:24 glc
	s_waitcnt vmcnt(0)
	v_cmp_ne_u64_e32 vcc_lo, v[17:18], v[6:7]
	s_and_b32 exec_lo, exec_lo, vcc_lo
	s_cbranch_execz .LBB3_547
; %bb.621:                              ;   in Loop: Header=BB3_548 Depth=1
	s_mov_b32 s4, 0
.LBB3_622:                              ;   Parent Loop BB3_548 Depth=1
                                        ; =>  This Inner Loop Header: Depth=2
	s_sleep 1
	global_store_dwordx2 v[2:3], v[17:18], off
	s_waitcnt_vscnt null, 0x0
	global_atomic_cmpswap_x2 v[6:7], v10, v[15:18], s[38:39] offset:24 glc
	s_waitcnt vmcnt(0)
	v_cmp_eq_u64_e32 vcc_lo, v[6:7], v[17:18]
	v_mov_b32_e32 v18, v7
	v_mov_b32_e32 v17, v6
	s_or_b32 s4, vcc_lo, s4
	s_andn2_b32 exec_lo, exec_lo, s4
	s_cbranch_execnz .LBB3_622
	s_branch .LBB3_547
.LBB3_623:
	s_branch .LBB3_652
.LBB3_624:
	s_cbranch_execz .LBB3_652
; %bb.625:
	v_readfirstlane_b32 s4, v51
	v_mov_b32_e32 v6, 0
	v_mov_b32_e32 v7, 0
	v_cmp_eq_u32_e64 s4, s4, v51
	s_and_saveexec_b32 s5, s4
	s_cbranch_execz .LBB3_631
; %bb.626:
	s_waitcnt vmcnt(0)
	v_mov_b32_e32 v2, 0
	s_mov_b32 s6, exec_lo
	global_load_dwordx2 v[11:12], v2, s[38:39] offset:24 glc dlc
	s_waitcnt vmcnt(0)
	buffer_gl1_inv
	buffer_gl0_inv
	s_clause 0x1
	global_load_dwordx2 v[6:7], v2, s[38:39] offset:40
	global_load_dwordx2 v[9:10], v2, s[38:39]
	s_waitcnt vmcnt(1)
	v_and_b32_e32 v3, v7, v12
	v_and_b32_e32 v6, v6, v11
	v_mul_lo_u32 v3, v3, 24
	v_mul_hi_u32 v7, v6, 24
	v_mul_lo_u32 v6, v6, 24
	v_add_nc_u32_e32 v3, v7, v3
	s_waitcnt vmcnt(0)
	v_add_co_u32 v6, vcc_lo, v9, v6
	v_add_co_ci_u32_e32 v7, vcc_lo, v10, v3, vcc_lo
	global_load_dwordx2 v[9:10], v[6:7], off glc dlc
	s_waitcnt vmcnt(0)
	global_atomic_cmpswap_x2 v[6:7], v2, v[9:12], s[38:39] offset:24 glc
	s_waitcnt vmcnt(0)
	buffer_gl1_inv
	buffer_gl0_inv
	v_cmpx_ne_u64_e64 v[6:7], v[11:12]
	s_cbranch_execz .LBB3_630
; %bb.627:
	s_mov_b32 s7, 0
	.p2align	6
.LBB3_628:                              ; =>This Inner Loop Header: Depth=1
	s_sleep 1
	s_clause 0x1
	global_load_dwordx2 v[9:10], v2, s[38:39] offset:40
	global_load_dwordx2 v[13:14], v2, s[38:39]
	v_mov_b32_e32 v12, v7
	v_mov_b32_e32 v11, v6
	s_waitcnt vmcnt(1)
	v_and_b32_e32 v3, v9, v11
	v_and_b32_e32 v9, v10, v12
	s_waitcnt vmcnt(0)
	v_mad_u64_u32 v[6:7], null, v3, 24, v[13:14]
	v_mov_b32_e32 v3, v7
	v_mad_u64_u32 v[9:10], null, v9, 24, v[3:4]
	v_mov_b32_e32 v7, v9
	global_load_dwordx2 v[9:10], v[6:7], off glc dlc
	s_waitcnt vmcnt(0)
	global_atomic_cmpswap_x2 v[6:7], v2, v[9:12], s[38:39] offset:24 glc
	s_waitcnt vmcnt(0)
	buffer_gl1_inv
	buffer_gl0_inv
	v_cmp_eq_u64_e32 vcc_lo, v[6:7], v[11:12]
	s_or_b32 s7, vcc_lo, s7
	s_andn2_b32 exec_lo, exec_lo, s7
	s_cbranch_execnz .LBB3_628
; %bb.629:
	s_or_b32 exec_lo, exec_lo, s7
.LBB3_630:
	s_or_b32 exec_lo, exec_lo, s6
.LBB3_631:
	s_or_b32 exec_lo, exec_lo, s5
	s_waitcnt vmcnt(0)
	v_mov_b32_e32 v2, 0
	v_readfirstlane_b32 s6, v6
	v_readfirstlane_b32 s7, v7
	s_mov_b32 s5, exec_lo
	s_clause 0x1
	global_load_dwordx2 v[13:14], v2, s[38:39] offset:40
	global_load_dwordx4 v[9:12], v2, s[38:39]
	s_waitcnt vmcnt(1)
	v_readfirstlane_b32 s10, v13
	v_readfirstlane_b32 s11, v14
	s_and_b64 s[10:11], s[6:7], s[10:11]
	s_mul_i32 s16, s11, 24
	s_mul_hi_u32 s17, s10, 24
	s_mul_i32 s18, s10, 24
	s_add_i32 s17, s17, s16
	s_waitcnt vmcnt(0)
	v_add_co_u32 v6, vcc_lo, v9, s18
	v_add_co_ci_u32_e32 v7, vcc_lo, s17, v10, vcc_lo
	s_and_saveexec_b32 s16, s4
	s_cbranch_execz .LBB3_633
; %bb.632:
	v_mov_b32_e32 v13, s5
	v_mov_b32_e32 v14, v2
	;; [unrolled: 1-line block ×4, first 2 shown]
	global_store_dwordx4 v[6:7], v[13:16], off offset:8
.LBB3_633:
	s_or_b32 exec_lo, exec_lo, s16
	s_lshl_b64 s[10:11], s[10:11], 12
	s_mov_b32 s16, 0
	v_add_co_u32 v11, vcc_lo, v11, s10
	v_add_co_ci_u32_e32 v12, vcc_lo, s11, v12, vcc_lo
	s_mov_b32 s17, s16
	s_mov_b32 s18, s16
	;; [unrolled: 1-line block ×3, first 2 shown]
	v_and_or_b32 v0, 0xffffff1d, v0, 34
	v_mov_b32_e32 v3, v2
	v_readfirstlane_b32 s10, v11
	v_readfirstlane_b32 s11, v12
	v_mov_b32_e32 v11, s16
	v_mov_b32_e32 v12, s17
	;; [unrolled: 1-line block ×4, first 2 shown]
	global_store_dwordx4 v50, v[0:3], s[10:11]
	global_store_dwordx4 v50, v[11:14], s[10:11] offset:16
	global_store_dwordx4 v50, v[11:14], s[10:11] offset:32
	;; [unrolled: 1-line block ×3, first 2 shown]
	s_and_saveexec_b32 s5, s4
	s_cbranch_execz .LBB3_641
; %bb.634:
	v_mov_b32_e32 v11, 0
	v_mov_b32_e32 v12, s6
	;; [unrolled: 1-line block ×3, first 2 shown]
	s_clause 0x1
	global_load_dwordx2 v[14:15], v11, s[38:39] offset:32 glc dlc
	global_load_dwordx2 v[0:1], v11, s[38:39] offset:40
	s_waitcnt vmcnt(0)
	v_readfirstlane_b32 s10, v0
	v_readfirstlane_b32 s11, v1
	s_and_b64 s[10:11], s[10:11], s[6:7]
	s_mul_i32 s11, s11, 24
	s_mul_hi_u32 s16, s10, 24
	s_mul_i32 s10, s10, 24
	s_add_i32 s16, s16, s11
	v_add_co_u32 v9, vcc_lo, v9, s10
	v_add_co_ci_u32_e32 v10, vcc_lo, s16, v10, vcc_lo
	s_mov_b32 s10, exec_lo
	global_store_dwordx2 v[9:10], v[14:15], off
	s_waitcnt_vscnt null, 0x0
	global_atomic_cmpswap_x2 v[2:3], v11, v[12:15], s[38:39] offset:32 glc
	s_waitcnt vmcnt(0)
	v_cmpx_ne_u64_e64 v[2:3], v[14:15]
	s_cbranch_execz .LBB3_637
; %bb.635:
	s_mov_b32 s11, 0
.LBB3_636:                              ; =>This Inner Loop Header: Depth=1
	v_mov_b32_e32 v0, s6
	v_mov_b32_e32 v1, s7
	s_sleep 1
	global_store_dwordx2 v[9:10], v[2:3], off
	s_waitcnt_vscnt null, 0x0
	global_atomic_cmpswap_x2 v[0:1], v11, v[0:3], s[38:39] offset:32 glc
	s_waitcnt vmcnt(0)
	v_cmp_eq_u64_e32 vcc_lo, v[0:1], v[2:3]
	v_mov_b32_e32 v3, v1
	v_mov_b32_e32 v2, v0
	s_or_b32 s11, vcc_lo, s11
	s_andn2_b32 exec_lo, exec_lo, s11
	s_cbranch_execnz .LBB3_636
.LBB3_637:
	s_or_b32 exec_lo, exec_lo, s10
	v_mov_b32_e32 v3, 0
	s_mov_b32 s11, exec_lo
	s_mov_b32 s10, exec_lo
	v_mbcnt_lo_u32_b32 v2, s11, 0
	global_load_dwordx2 v[0:1], v3, s[38:39] offset:16
	v_cmpx_eq_u32_e32 0, v2
	s_cbranch_execz .LBB3_639
; %bb.638:
	s_bcnt1_i32_b32 s11, s11
	v_mov_b32_e32 v2, s11
	s_waitcnt vmcnt(0)
	global_atomic_add_x2 v[0:1], v[2:3], off offset:8
.LBB3_639:
	s_or_b32 exec_lo, exec_lo, s10
	s_waitcnt vmcnt(0)
	global_load_dwordx2 v[2:3], v[0:1], off offset:16
	s_waitcnt vmcnt(0)
	v_cmp_eq_u64_e32 vcc_lo, 0, v[2:3]
	s_cbranch_vccnz .LBB3_641
; %bb.640:
	global_load_dword v0, v[0:1], off offset:24
	v_mov_b32_e32 v1, 0
	s_waitcnt vmcnt(0)
	v_and_b32_e32 v9, 0x7fffff, v0
	s_waitcnt_vscnt null, 0x0
	global_store_dwordx2 v[2:3], v[0:1], off
	v_readfirstlane_b32 m0, v9
	s_sendmsg sendmsg(MSG_INTERRUPT)
.LBB3_641:
	s_or_b32 exec_lo, exec_lo, s5
	s_branch .LBB3_645
	.p2align	6
.LBB3_642:                              ;   in Loop: Header=BB3_645 Depth=1
	s_or_b32 exec_lo, exec_lo, s5
	v_readfirstlane_b32 s5, v0
	s_cmp_eq_u32 s5, 0
	s_cbranch_scc1 .LBB3_644
; %bb.643:                              ;   in Loop: Header=BB3_645 Depth=1
	s_sleep 1
	s_cbranch_execnz .LBB3_645
	s_branch .LBB3_647
	.p2align	6
.LBB3_644:
	s_branch .LBB3_647
.LBB3_645:                              ; =>This Inner Loop Header: Depth=1
	v_mov_b32_e32 v0, 1
	s_and_saveexec_b32 s5, s4
	s_cbranch_execz .LBB3_642
; %bb.646:                              ;   in Loop: Header=BB3_645 Depth=1
	global_load_dword v0, v[6:7], off offset:20 glc dlc
	s_waitcnt vmcnt(0)
	buffer_gl1_inv
	buffer_gl0_inv
	v_and_b32_e32 v0, 1, v0
	s_branch .LBB3_642
.LBB3_647:
	s_and_saveexec_b32 s5, s4
	s_cbranch_execz .LBB3_651
; %bb.648:
	v_mov_b32_e32 v9, 0
	s_clause 0x2
	global_load_dwordx2 v[2:3], v9, s[38:39] offset:40
	global_load_dwordx2 v[10:11], v9, s[38:39] offset:24 glc dlc
	global_load_dwordx2 v[6:7], v9, s[38:39]
	s_waitcnt vmcnt(2)
	v_add_co_u32 v12, vcc_lo, v2, 1
	v_add_co_ci_u32_e32 v13, vcc_lo, 0, v3, vcc_lo
	v_add_co_u32 v0, vcc_lo, v12, s6
	v_add_co_ci_u32_e32 v1, vcc_lo, s7, v13, vcc_lo
	v_cmp_eq_u64_e32 vcc_lo, 0, v[0:1]
	v_cndmask_b32_e32 v1, v1, v13, vcc_lo
	v_cndmask_b32_e32 v0, v0, v12, vcc_lo
	v_and_b32_e32 v3, v1, v3
	v_and_b32_e32 v2, v0, v2
	v_mul_lo_u32 v3, v3, 24
	v_mul_hi_u32 v12, v2, 24
	v_mul_lo_u32 v2, v2, 24
	v_add_nc_u32_e32 v3, v12, v3
	s_waitcnt vmcnt(0)
	v_add_co_u32 v6, vcc_lo, v6, v2
	v_mov_b32_e32 v2, v10
	v_add_co_ci_u32_e32 v7, vcc_lo, v7, v3, vcc_lo
	v_mov_b32_e32 v3, v11
	global_store_dwordx2 v[6:7], v[10:11], off
	s_waitcnt_vscnt null, 0x0
	global_atomic_cmpswap_x2 v[2:3], v9, v[0:3], s[38:39] offset:24 glc
	s_waitcnt vmcnt(0)
	v_cmp_ne_u64_e32 vcc_lo, v[2:3], v[10:11]
	s_and_b32 exec_lo, exec_lo, vcc_lo
	s_cbranch_execz .LBB3_651
; %bb.649:
	s_mov_b32 s4, 0
.LBB3_650:                              ; =>This Inner Loop Header: Depth=1
	s_sleep 1
	global_store_dwordx2 v[6:7], v[2:3], off
	s_waitcnt_vscnt null, 0x0
	global_atomic_cmpswap_x2 v[10:11], v9, v[0:3], s[38:39] offset:24 glc
	s_waitcnt vmcnt(0)
	v_cmp_eq_u64_e32 vcc_lo, v[10:11], v[2:3]
	v_mov_b32_e32 v2, v10
	v_mov_b32_e32 v3, v11
	s_or_b32 s4, vcc_lo, s4
	s_andn2_b32 exec_lo, exec_lo, s4
	s_cbranch_execnz .LBB3_650
.LBB3_651:
	s_or_b32 exec_lo, exec_lo, s5
.LBB3_652:
	v_readfirstlane_b32 s4, v51
	v_mov_b32_e32 v6, 0
	v_mov_b32_e32 v7, 0
	v_cmp_eq_u32_e64 s4, s4, v51
	s_and_saveexec_b32 s5, s4
	s_cbranch_execz .LBB3_658
; %bb.653:
	s_waitcnt vmcnt(0)
	v_mov_b32_e32 v0, 0
	s_mov_b32 s6, exec_lo
	global_load_dwordx2 v[11:12], v0, s[38:39] offset:24 glc dlc
	s_waitcnt vmcnt(0)
	buffer_gl1_inv
	buffer_gl0_inv
	s_clause 0x1
	global_load_dwordx2 v[1:2], v0, s[38:39] offset:40
	global_load_dwordx2 v[6:7], v0, s[38:39]
	s_waitcnt vmcnt(1)
	v_and_b32_e32 v2, v2, v12
	v_and_b32_e32 v1, v1, v11
	v_mul_lo_u32 v2, v2, 24
	v_mul_hi_u32 v3, v1, 24
	v_mul_lo_u32 v1, v1, 24
	v_add_nc_u32_e32 v2, v3, v2
	s_waitcnt vmcnt(0)
	v_add_co_u32 v1, vcc_lo, v6, v1
	v_add_co_ci_u32_e32 v2, vcc_lo, v7, v2, vcc_lo
	global_load_dwordx2 v[9:10], v[1:2], off glc dlc
	s_waitcnt vmcnt(0)
	global_atomic_cmpswap_x2 v[6:7], v0, v[9:12], s[38:39] offset:24 glc
	s_waitcnt vmcnt(0)
	buffer_gl1_inv
	buffer_gl0_inv
	v_cmpx_ne_u64_e64 v[6:7], v[11:12]
	s_cbranch_execz .LBB3_657
; %bb.654:
	s_mov_b32 s7, 0
	.p2align	6
.LBB3_655:                              ; =>This Inner Loop Header: Depth=1
	s_sleep 1
	s_clause 0x1
	global_load_dwordx2 v[1:2], v0, s[38:39] offset:40
	global_load_dwordx2 v[9:10], v0, s[38:39]
	v_mov_b32_e32 v12, v7
	v_mov_b32_e32 v11, v6
	s_waitcnt vmcnt(1)
	v_and_b32_e32 v1, v1, v11
	v_and_b32_e32 v2, v2, v12
	s_waitcnt vmcnt(0)
	v_mad_u64_u32 v[6:7], null, v1, 24, v[9:10]
	v_mov_b32_e32 v1, v7
	v_mad_u64_u32 v[1:2], null, v2, 24, v[1:2]
	v_mov_b32_e32 v7, v1
	global_load_dwordx2 v[9:10], v[6:7], off glc dlc
	s_waitcnt vmcnt(0)
	global_atomic_cmpswap_x2 v[6:7], v0, v[9:12], s[38:39] offset:24 glc
	s_waitcnt vmcnt(0)
	buffer_gl1_inv
	buffer_gl0_inv
	v_cmp_eq_u64_e32 vcc_lo, v[6:7], v[11:12]
	s_or_b32 s7, vcc_lo, s7
	s_andn2_b32 exec_lo, exec_lo, s7
	s_cbranch_execnz .LBB3_655
; %bb.656:
	s_or_b32 exec_lo, exec_lo, s7
.LBB3_657:
	s_or_b32 exec_lo, exec_lo, s6
.LBB3_658:
	s_or_b32 exec_lo, exec_lo, s5
	s_waitcnt vmcnt(0)
	v_mov_b32_e32 v10, 0
	v_readfirstlane_b32 s6, v6
	v_readfirstlane_b32 s7, v7
	s_mov_b32 s5, exec_lo
	s_clause 0x1
	global_load_dwordx2 v[11:12], v10, s[38:39] offset:40
	global_load_dwordx4 v[0:3], v10, s[38:39]
	s_waitcnt vmcnt(1)
	v_readfirstlane_b32 s10, v11
	v_readfirstlane_b32 s11, v12
	s_and_b64 s[10:11], s[6:7], s[10:11]
	s_mul_i32 s16, s11, 24
	s_mul_hi_u32 s17, s10, 24
	s_mul_i32 s18, s10, 24
	s_add_i32 s17, s17, s16
	s_waitcnt vmcnt(0)
	v_add_co_u32 v6, vcc_lo, v0, s18
	v_add_co_ci_u32_e32 v7, vcc_lo, s17, v1, vcc_lo
	s_and_saveexec_b32 s16, s4
	s_cbranch_execz .LBB3_660
; %bb.659:
	v_mov_b32_e32 v9, s5
	v_mov_b32_e32 v11, 2
	;; [unrolled: 1-line block ×3, first 2 shown]
	global_store_dwordx4 v[6:7], v[9:12], off offset:8
.LBB3_660:
	s_or_b32 exec_lo, exec_lo, s16
	s_lshl_b64 s[10:11], s[10:11], 12
	s_mov_b32 s16, 0
	v_add_co_u32 v2, vcc_lo, v2, s10
	v_add_co_ci_u32_e32 v3, vcc_lo, s11, v3, vcc_lo
	s_mov_b32 s17, s16
	v_add_co_u32 v13, vcc_lo, v2, v50
	s_mov_b32 s18, s16
	s_mov_b32 s19, s16
	v_mov_b32_e32 v9, 33
	v_mov_b32_e32 v11, v10
	;; [unrolled: 1-line block ×3, first 2 shown]
	v_readfirstlane_b32 s10, v2
	v_readfirstlane_b32 s11, v3
	v_mov_b32_e32 v15, s16
	v_add_co_ci_u32_e32 v14, vcc_lo, 0, v3, vcc_lo
	v_mov_b32_e32 v16, s17
	v_mov_b32_e32 v17, s18
	;; [unrolled: 1-line block ×3, first 2 shown]
	global_store_dwordx4 v50, v[9:12], s[10:11]
	global_store_dwordx4 v50, v[15:18], s[10:11] offset:16
	global_store_dwordx4 v50, v[15:18], s[10:11] offset:32
	;; [unrolled: 1-line block ×3, first 2 shown]
	s_and_saveexec_b32 s5, s4
	s_cbranch_execz .LBB3_668
; %bb.661:
	v_mov_b32_e32 v11, 0
	v_mov_b32_e32 v15, s6
	;; [unrolled: 1-line block ×3, first 2 shown]
	s_clause 0x1
	global_load_dwordx2 v[17:18], v11, s[38:39] offset:32 glc dlc
	global_load_dwordx2 v[2:3], v11, s[38:39] offset:40
	s_waitcnt vmcnt(0)
	v_readfirstlane_b32 s10, v2
	v_readfirstlane_b32 s11, v3
	s_and_b64 s[10:11], s[10:11], s[6:7]
	s_mul_i32 s11, s11, 24
	s_mul_hi_u32 s16, s10, 24
	s_mul_i32 s10, s10, 24
	s_add_i32 s16, s16, s11
	v_add_co_u32 v9, vcc_lo, v0, s10
	v_add_co_ci_u32_e32 v10, vcc_lo, s16, v1, vcc_lo
	s_mov_b32 s10, exec_lo
	global_store_dwordx2 v[9:10], v[17:18], off
	s_waitcnt_vscnt null, 0x0
	global_atomic_cmpswap_x2 v[2:3], v11, v[15:18], s[38:39] offset:32 glc
	s_waitcnt vmcnt(0)
	v_cmpx_ne_u64_e64 v[2:3], v[17:18]
	s_cbranch_execz .LBB3_664
; %bb.662:
	s_mov_b32 s11, 0
.LBB3_663:                              ; =>This Inner Loop Header: Depth=1
	v_mov_b32_e32 v0, s6
	v_mov_b32_e32 v1, s7
	s_sleep 1
	global_store_dwordx2 v[9:10], v[2:3], off
	s_waitcnt_vscnt null, 0x0
	global_atomic_cmpswap_x2 v[0:1], v11, v[0:3], s[38:39] offset:32 glc
	s_waitcnt vmcnt(0)
	v_cmp_eq_u64_e32 vcc_lo, v[0:1], v[2:3]
	v_mov_b32_e32 v3, v1
	v_mov_b32_e32 v2, v0
	s_or_b32 s11, vcc_lo, s11
	s_andn2_b32 exec_lo, exec_lo, s11
	s_cbranch_execnz .LBB3_663
.LBB3_664:
	s_or_b32 exec_lo, exec_lo, s10
	v_mov_b32_e32 v3, 0
	s_mov_b32 s11, exec_lo
	s_mov_b32 s10, exec_lo
	v_mbcnt_lo_u32_b32 v2, s11, 0
	global_load_dwordx2 v[0:1], v3, s[38:39] offset:16
	v_cmpx_eq_u32_e32 0, v2
	s_cbranch_execz .LBB3_666
; %bb.665:
	s_bcnt1_i32_b32 s11, s11
	v_mov_b32_e32 v2, s11
	s_waitcnt vmcnt(0)
	global_atomic_add_x2 v[0:1], v[2:3], off offset:8
.LBB3_666:
	s_or_b32 exec_lo, exec_lo, s10
	s_waitcnt vmcnt(0)
	global_load_dwordx2 v[2:3], v[0:1], off offset:16
	s_waitcnt vmcnt(0)
	v_cmp_eq_u64_e32 vcc_lo, 0, v[2:3]
	s_cbranch_vccnz .LBB3_668
; %bb.667:
	global_load_dword v0, v[0:1], off offset:24
	v_mov_b32_e32 v1, 0
	s_waitcnt vmcnt(0)
	v_and_b32_e32 v9, 0x7fffff, v0
	s_waitcnt_vscnt null, 0x0
	global_store_dwordx2 v[2:3], v[0:1], off
	v_readfirstlane_b32 m0, v9
	s_sendmsg sendmsg(MSG_INTERRUPT)
.LBB3_668:
	s_or_b32 exec_lo, exec_lo, s5
	s_branch .LBB3_672
	.p2align	6
.LBB3_669:                              ;   in Loop: Header=BB3_672 Depth=1
	s_or_b32 exec_lo, exec_lo, s5
	v_readfirstlane_b32 s5, v0
	s_cmp_eq_u32 s5, 0
	s_cbranch_scc1 .LBB3_671
; %bb.670:                              ;   in Loop: Header=BB3_672 Depth=1
	s_sleep 1
	s_cbranch_execnz .LBB3_672
	s_branch .LBB3_674
	.p2align	6
.LBB3_671:
	s_branch .LBB3_674
.LBB3_672:                              ; =>This Inner Loop Header: Depth=1
	v_mov_b32_e32 v0, 1
	s_and_saveexec_b32 s5, s4
	s_cbranch_execz .LBB3_669
; %bb.673:                              ;   in Loop: Header=BB3_672 Depth=1
	global_load_dword v0, v[6:7], off offset:20 glc dlc
	s_waitcnt vmcnt(0)
	buffer_gl1_inv
	buffer_gl0_inv
	v_and_b32_e32 v0, 1, v0
	s_branch .LBB3_669
.LBB3_674:
	global_load_dwordx2 v[0:1], v[13:14], off
	s_and_saveexec_b32 s5, s4
	s_cbranch_execz .LBB3_678
; %bb.675:
	v_mov_b32_e32 v6, 0
	s_clause 0x2
	global_load_dwordx2 v[2:3], v6, s[38:39] offset:40
	global_load_dwordx2 v[13:14], v6, s[38:39] offset:24 glc dlc
	global_load_dwordx2 v[11:12], v6, s[38:39]
	s_waitcnt vmcnt(2)
	v_add_co_u32 v7, vcc_lo, v2, 1
	v_add_co_ci_u32_e32 v15, vcc_lo, 0, v3, vcc_lo
	v_add_co_u32 v9, vcc_lo, v7, s6
	v_add_co_ci_u32_e32 v10, vcc_lo, s7, v15, vcc_lo
	v_cmp_eq_u64_e32 vcc_lo, 0, v[9:10]
	v_cndmask_b32_e32 v10, v10, v15, vcc_lo
	v_cndmask_b32_e32 v9, v9, v7, vcc_lo
	v_and_b32_e32 v3, v10, v3
	v_and_b32_e32 v2, v9, v2
	v_mul_lo_u32 v3, v3, 24
	v_mul_hi_u32 v7, v2, 24
	v_mul_lo_u32 v2, v2, 24
	v_add_nc_u32_e32 v3, v7, v3
	s_waitcnt vmcnt(0)
	v_add_co_u32 v2, vcc_lo, v11, v2
	v_mov_b32_e32 v11, v13
	v_add_co_ci_u32_e32 v3, vcc_lo, v12, v3, vcc_lo
	v_mov_b32_e32 v12, v14
	global_store_dwordx2 v[2:3], v[13:14], off
	s_waitcnt_vscnt null, 0x0
	global_atomic_cmpswap_x2 v[11:12], v6, v[9:12], s[38:39] offset:24 glc
	s_waitcnt vmcnt(0)
	v_cmp_ne_u64_e32 vcc_lo, v[11:12], v[13:14]
	s_and_b32 exec_lo, exec_lo, vcc_lo
	s_cbranch_execz .LBB3_678
; %bb.676:
	s_mov_b32 s4, 0
.LBB3_677:                              ; =>This Inner Loop Header: Depth=1
	s_sleep 1
	global_store_dwordx2 v[2:3], v[11:12], off
	s_waitcnt_vscnt null, 0x0
	global_atomic_cmpswap_x2 v[13:14], v6, v[9:12], s[38:39] offset:24 glc
	s_waitcnt vmcnt(0)
	v_cmp_eq_u64_e32 vcc_lo, v[13:14], v[11:12]
	v_mov_b32_e32 v11, v13
	v_mov_b32_e32 v12, v14
	s_or_b32 s4, vcc_lo, s4
	s_andn2_b32 exec_lo, exec_lo, s4
	s_cbranch_execnz .LBB3_677
.LBB3_678:
	s_or_b32 exec_lo, exec_lo, s5
	s_and_b32 vcc_lo, exec_lo, s42
	s_cbranch_vccz .LBB3_757
; %bb.679:
	s_waitcnt vmcnt(0)
	v_and_b32_e32 v38, 2, v0
	v_mov_b32_e32 v13, 0
	v_and_b32_e32 v9, -3, v0
	v_mov_b32_e32 v10, v1
	v_mov_b32_e32 v14, 2
	;; [unrolled: 1-line block ×3, first 2 shown]
	s_mov_b64 s[10:11], 3
	s_getpc_b64 s[6:7]
	s_add_u32 s6, s6, .str.9@rel32@lo+4
	s_addc_u32 s7, s7, .str.9@rel32@hi+12
	s_branch .LBB3_681
.LBB3_680:                              ;   in Loop: Header=BB3_681 Depth=1
	s_or_b32 exec_lo, exec_lo, s5
	s_sub_u32 s10, s10, s16
	s_subb_u32 s11, s11, s17
	s_add_u32 s6, s6, s16
	s_addc_u32 s7, s7, s17
	s_cmp_lg_u64 s[10:11], 0
	s_cbranch_scc0 .LBB3_756
.LBB3_681:                              ; =>This Loop Header: Depth=1
                                        ;     Child Loop BB3_690 Depth 2
                                        ;     Child Loop BB3_686 Depth 2
	;; [unrolled: 1-line block ×11, first 2 shown]
	v_cmp_lt_u64_e64 s4, s[10:11], 56
	v_cmp_gt_u64_e64 s5, s[10:11], 7
                                        ; implicit-def: $vgpr18_vgpr19
                                        ; implicit-def: $sgpr22
	s_and_b32 s4, s4, exec_lo
	s_cselect_b32 s17, s11, 0
	s_cselect_b32 s16, s10, 56
	s_and_b32 vcc_lo, exec_lo, s5
	s_mov_b32 s4, -1
	s_cbranch_vccz .LBB3_688
; %bb.682:                              ;   in Loop: Header=BB3_681 Depth=1
	s_andn2_b32 vcc_lo, exec_lo, s4
	s_mov_b64 s[4:5], s[6:7]
	s_cbranch_vccz .LBB3_692
.LBB3_683:                              ;   in Loop: Header=BB3_681 Depth=1
	s_cmp_gt_u32 s22, 7
	s_cbranch_scc1 .LBB3_693
.LBB3_684:                              ;   in Loop: Header=BB3_681 Depth=1
	v_mov_b32_e32 v20, 0
	v_mov_b32_e32 v21, 0
	s_cmp_eq_u32 s22, 0
	s_cbranch_scc1 .LBB3_687
; %bb.685:                              ;   in Loop: Header=BB3_681 Depth=1
	s_mov_b64 s[18:19], 0
	s_mov_b64 s[20:21], 0
.LBB3_686:                              ;   Parent Loop BB3_681 Depth=1
                                        ; =>  This Inner Loop Header: Depth=2
	s_add_u32 s24, s4, s20
	s_addc_u32 s25, s5, s21
	s_add_u32 s20, s20, 1
	global_load_ubyte v2, v13, s[24:25]
	s_addc_u32 s21, s21, 0
	s_waitcnt vmcnt(0)
	v_and_b32_e32 v12, 0xffff, v2
	v_lshlrev_b64 v[2:3], s18, v[12:13]
	s_add_u32 s18, s18, 8
	s_addc_u32 s19, s19, 0
	s_cmp_lg_u32 s22, s20
	v_or_b32_e32 v20, v2, v20
	v_or_b32_e32 v21, v3, v21
	s_cbranch_scc1 .LBB3_686
.LBB3_687:                              ;   in Loop: Header=BB3_681 Depth=1
	s_mov_b32 s23, 0
	s_cbranch_execz .LBB3_694
	s_branch .LBB3_695
.LBB3_688:                              ;   in Loop: Header=BB3_681 Depth=1
	v_mov_b32_e32 v18, 0
	v_mov_b32_e32 v19, 0
	s_cmp_eq_u64 s[10:11], 0
	s_mov_b64 s[4:5], 0
	s_cbranch_scc1 .LBB3_691
; %bb.689:                              ;   in Loop: Header=BB3_681 Depth=1
	v_mov_b32_e32 v18, 0
	v_mov_b32_e32 v19, 0
	s_lshl_b64 s[18:19], s[16:17], 3
	s_mov_b64 s[20:21], s[6:7]
.LBB3_690:                              ;   Parent Loop BB3_681 Depth=1
                                        ; =>  This Inner Loop Header: Depth=2
	global_load_ubyte v2, v13, s[20:21]
	s_waitcnt vmcnt(0)
	v_and_b32_e32 v12, 0xffff, v2
	v_lshlrev_b64 v[2:3], s4, v[12:13]
	s_add_u32 s4, s4, 8
	s_addc_u32 s5, s5, 0
	s_add_u32 s20, s20, 1
	s_addc_u32 s21, s21, 0
	s_cmp_lg_u32 s18, s4
	v_or_b32_e32 v18, v2, v18
	v_or_b32_e32 v19, v3, v19
	s_cbranch_scc1 .LBB3_690
.LBB3_691:                              ;   in Loop: Header=BB3_681 Depth=1
	s_mov_b32 s22, 0
	s_mov_b64 s[4:5], s[6:7]
	s_cbranch_execnz .LBB3_683
.LBB3_692:                              ;   in Loop: Header=BB3_681 Depth=1
	global_load_dwordx2 v[18:19], v13, s[6:7]
	s_add_i32 s22, s16, -8
	s_add_u32 s4, s6, 8
	s_addc_u32 s5, s7, 0
	s_cmp_gt_u32 s22, 7
	s_cbranch_scc0 .LBB3_684
.LBB3_693:                              ;   in Loop: Header=BB3_681 Depth=1
                                        ; implicit-def: $vgpr20_vgpr21
                                        ; implicit-def: $sgpr23
.LBB3_694:                              ;   in Loop: Header=BB3_681 Depth=1
	global_load_dwordx2 v[20:21], v13, s[4:5]
	s_add_i32 s23, s22, -8
	s_add_u32 s4, s4, 8
	s_addc_u32 s5, s5, 0
.LBB3_695:                              ;   in Loop: Header=BB3_681 Depth=1
	s_cmp_gt_u32 s23, 7
	s_cbranch_scc1 .LBB3_700
; %bb.696:                              ;   in Loop: Header=BB3_681 Depth=1
	v_mov_b32_e32 v22, 0
	v_mov_b32_e32 v23, 0
	s_cmp_eq_u32 s23, 0
	s_cbranch_scc1 .LBB3_699
; %bb.697:                              ;   in Loop: Header=BB3_681 Depth=1
	s_mov_b64 s[18:19], 0
	s_mov_b64 s[20:21], 0
.LBB3_698:                              ;   Parent Loop BB3_681 Depth=1
                                        ; =>  This Inner Loop Header: Depth=2
	s_add_u32 s24, s4, s20
	s_addc_u32 s25, s5, s21
	s_add_u32 s20, s20, 1
	global_load_ubyte v2, v13, s[24:25]
	s_addc_u32 s21, s21, 0
	s_waitcnt vmcnt(0)
	v_and_b32_e32 v12, 0xffff, v2
	v_lshlrev_b64 v[2:3], s18, v[12:13]
	s_add_u32 s18, s18, 8
	s_addc_u32 s19, s19, 0
	s_cmp_lg_u32 s23, s20
	v_or_b32_e32 v22, v2, v22
	v_or_b32_e32 v23, v3, v23
	s_cbranch_scc1 .LBB3_698
.LBB3_699:                              ;   in Loop: Header=BB3_681 Depth=1
	s_mov_b32 s22, 0
	s_cbranch_execz .LBB3_701
	s_branch .LBB3_702
.LBB3_700:                              ;   in Loop: Header=BB3_681 Depth=1
                                        ; implicit-def: $sgpr22
.LBB3_701:                              ;   in Loop: Header=BB3_681 Depth=1
	global_load_dwordx2 v[22:23], v13, s[4:5]
	s_add_i32 s22, s23, -8
	s_add_u32 s4, s4, 8
	s_addc_u32 s5, s5, 0
.LBB3_702:                              ;   in Loop: Header=BB3_681 Depth=1
	s_cmp_gt_u32 s22, 7
	s_cbranch_scc1 .LBB3_707
; %bb.703:                              ;   in Loop: Header=BB3_681 Depth=1
	v_mov_b32_e32 v24, 0
	v_mov_b32_e32 v25, 0
	s_cmp_eq_u32 s22, 0
	s_cbranch_scc1 .LBB3_706
; %bb.704:                              ;   in Loop: Header=BB3_681 Depth=1
	s_mov_b64 s[18:19], 0
	s_mov_b64 s[20:21], 0
.LBB3_705:                              ;   Parent Loop BB3_681 Depth=1
                                        ; =>  This Inner Loop Header: Depth=2
	s_add_u32 s24, s4, s20
	s_addc_u32 s25, s5, s21
	s_add_u32 s20, s20, 1
	global_load_ubyte v2, v13, s[24:25]
	s_addc_u32 s21, s21, 0
	s_waitcnt vmcnt(0)
	v_and_b32_e32 v12, 0xffff, v2
	v_lshlrev_b64 v[2:3], s18, v[12:13]
	s_add_u32 s18, s18, 8
	s_addc_u32 s19, s19, 0
	s_cmp_lg_u32 s22, s20
	v_or_b32_e32 v24, v2, v24
	v_or_b32_e32 v25, v3, v25
	s_cbranch_scc1 .LBB3_705
.LBB3_706:                              ;   in Loop: Header=BB3_681 Depth=1
	s_mov_b32 s23, 0
	s_cbranch_execz .LBB3_708
	s_branch .LBB3_709
.LBB3_707:                              ;   in Loop: Header=BB3_681 Depth=1
                                        ; implicit-def: $vgpr24_vgpr25
                                        ; implicit-def: $sgpr23
.LBB3_708:                              ;   in Loop: Header=BB3_681 Depth=1
	global_load_dwordx2 v[24:25], v13, s[4:5]
	s_add_i32 s23, s22, -8
	s_add_u32 s4, s4, 8
	s_addc_u32 s5, s5, 0
.LBB3_709:                              ;   in Loop: Header=BB3_681 Depth=1
	s_cmp_gt_u32 s23, 7
	s_cbranch_scc1 .LBB3_714
; %bb.710:                              ;   in Loop: Header=BB3_681 Depth=1
	v_mov_b32_e32 v26, 0
	v_mov_b32_e32 v27, 0
	s_cmp_eq_u32 s23, 0
	s_cbranch_scc1 .LBB3_713
; %bb.711:                              ;   in Loop: Header=BB3_681 Depth=1
	s_mov_b64 s[18:19], 0
	s_mov_b64 s[20:21], 0
.LBB3_712:                              ;   Parent Loop BB3_681 Depth=1
                                        ; =>  This Inner Loop Header: Depth=2
	s_add_u32 s24, s4, s20
	s_addc_u32 s25, s5, s21
	s_add_u32 s20, s20, 1
	global_load_ubyte v2, v13, s[24:25]
	s_addc_u32 s21, s21, 0
	s_waitcnt vmcnt(0)
	v_and_b32_e32 v12, 0xffff, v2
	v_lshlrev_b64 v[2:3], s18, v[12:13]
	s_add_u32 s18, s18, 8
	s_addc_u32 s19, s19, 0
	s_cmp_lg_u32 s23, s20
	v_or_b32_e32 v26, v2, v26
	v_or_b32_e32 v27, v3, v27
	s_cbranch_scc1 .LBB3_712
.LBB3_713:                              ;   in Loop: Header=BB3_681 Depth=1
	s_mov_b32 s22, 0
	s_cbranch_execz .LBB3_715
	s_branch .LBB3_716
.LBB3_714:                              ;   in Loop: Header=BB3_681 Depth=1
                                        ; implicit-def: $sgpr22
.LBB3_715:                              ;   in Loop: Header=BB3_681 Depth=1
	global_load_dwordx2 v[26:27], v13, s[4:5]
	s_add_i32 s22, s23, -8
	s_add_u32 s4, s4, 8
	s_addc_u32 s5, s5, 0
.LBB3_716:                              ;   in Loop: Header=BB3_681 Depth=1
	s_cmp_gt_u32 s22, 7
	s_cbranch_scc1 .LBB3_721
; %bb.717:                              ;   in Loop: Header=BB3_681 Depth=1
	v_mov_b32_e32 v28, 0
	v_mov_b32_e32 v29, 0
	s_cmp_eq_u32 s22, 0
	s_cbranch_scc1 .LBB3_720
; %bb.718:                              ;   in Loop: Header=BB3_681 Depth=1
	s_mov_b64 s[18:19], 0
	s_mov_b64 s[20:21], 0
.LBB3_719:                              ;   Parent Loop BB3_681 Depth=1
                                        ; =>  This Inner Loop Header: Depth=2
	s_add_u32 s24, s4, s20
	s_addc_u32 s25, s5, s21
	s_add_u32 s20, s20, 1
	global_load_ubyte v2, v13, s[24:25]
	s_addc_u32 s21, s21, 0
	s_waitcnt vmcnt(0)
	v_and_b32_e32 v12, 0xffff, v2
	v_lshlrev_b64 v[2:3], s18, v[12:13]
	s_add_u32 s18, s18, 8
	s_addc_u32 s19, s19, 0
	s_cmp_lg_u32 s22, s20
	v_or_b32_e32 v28, v2, v28
	v_or_b32_e32 v29, v3, v29
	s_cbranch_scc1 .LBB3_719
.LBB3_720:                              ;   in Loop: Header=BB3_681 Depth=1
	s_mov_b32 s23, 0
	s_cbranch_execz .LBB3_722
	s_branch .LBB3_723
.LBB3_721:                              ;   in Loop: Header=BB3_681 Depth=1
                                        ; implicit-def: $vgpr28_vgpr29
                                        ; implicit-def: $sgpr23
.LBB3_722:                              ;   in Loop: Header=BB3_681 Depth=1
	global_load_dwordx2 v[28:29], v13, s[4:5]
	s_add_i32 s23, s22, -8
	s_add_u32 s4, s4, 8
	s_addc_u32 s5, s5, 0
.LBB3_723:                              ;   in Loop: Header=BB3_681 Depth=1
	s_cmp_gt_u32 s23, 7
	s_cbranch_scc1 .LBB3_728
; %bb.724:                              ;   in Loop: Header=BB3_681 Depth=1
	v_mov_b32_e32 v30, 0
	v_mov_b32_e32 v31, 0
	s_cmp_eq_u32 s23, 0
	s_cbranch_scc1 .LBB3_727
; %bb.725:                              ;   in Loop: Header=BB3_681 Depth=1
	s_mov_b64 s[18:19], 0
	s_mov_b64 s[20:21], s[4:5]
.LBB3_726:                              ;   Parent Loop BB3_681 Depth=1
                                        ; =>  This Inner Loop Header: Depth=2
	global_load_ubyte v2, v13, s[20:21]
	s_add_i32 s23, s23, -1
	s_waitcnt vmcnt(0)
	v_and_b32_e32 v12, 0xffff, v2
	v_lshlrev_b64 v[2:3], s18, v[12:13]
	s_add_u32 s18, s18, 8
	s_addc_u32 s19, s19, 0
	s_add_u32 s20, s20, 1
	s_addc_u32 s21, s21, 0
	s_cmp_lg_u32 s23, 0
	v_or_b32_e32 v30, v2, v30
	v_or_b32_e32 v31, v3, v31
	s_cbranch_scc1 .LBB3_726
.LBB3_727:                              ;   in Loop: Header=BB3_681 Depth=1
	s_cbranch_execz .LBB3_729
	s_branch .LBB3_730
.LBB3_728:                              ;   in Loop: Header=BB3_681 Depth=1
.LBB3_729:                              ;   in Loop: Header=BB3_681 Depth=1
	global_load_dwordx2 v[30:31], v13, s[4:5]
.LBB3_730:                              ;   in Loop: Header=BB3_681 Depth=1
	v_readfirstlane_b32 s4, v51
	v_mov_b32_e32 v2, 0
	v_mov_b32_e32 v3, 0
	v_cmp_eq_u32_e64 s4, s4, v51
	s_and_saveexec_b32 s5, s4
	s_cbranch_execz .LBB3_736
; %bb.731:                              ;   in Loop: Header=BB3_681 Depth=1
	global_load_dwordx2 v[34:35], v13, s[38:39] offset:24 glc dlc
	s_waitcnt vmcnt(0)
	buffer_gl1_inv
	buffer_gl0_inv
	s_clause 0x1
	global_load_dwordx2 v[2:3], v13, s[38:39] offset:40
	global_load_dwordx2 v[6:7], v13, s[38:39]
	s_mov_b32 s18, exec_lo
	s_waitcnt vmcnt(1)
	v_and_b32_e32 v3, v3, v35
	v_and_b32_e32 v2, v2, v34
	v_mul_lo_u32 v3, v3, 24
	v_mul_hi_u32 v11, v2, 24
	v_mul_lo_u32 v2, v2, 24
	v_add_nc_u32_e32 v3, v11, v3
	s_waitcnt vmcnt(0)
	v_add_co_u32 v2, vcc_lo, v6, v2
	v_add_co_ci_u32_e32 v3, vcc_lo, v7, v3, vcc_lo
	global_load_dwordx2 v[32:33], v[2:3], off glc dlc
	s_waitcnt vmcnt(0)
	global_atomic_cmpswap_x2 v[2:3], v13, v[32:35], s[38:39] offset:24 glc
	s_waitcnt vmcnt(0)
	buffer_gl1_inv
	buffer_gl0_inv
	v_cmpx_ne_u64_e64 v[2:3], v[34:35]
	s_cbranch_execz .LBB3_735
; %bb.732:                              ;   in Loop: Header=BB3_681 Depth=1
	s_mov_b32 s19, 0
	.p2align	6
.LBB3_733:                              ;   Parent Loop BB3_681 Depth=1
                                        ; =>  This Inner Loop Header: Depth=2
	s_sleep 1
	s_clause 0x1
	global_load_dwordx2 v[6:7], v13, s[38:39] offset:40
	global_load_dwordx2 v[11:12], v13, s[38:39]
	v_mov_b32_e32 v35, v3
	v_mov_b32_e32 v34, v2
	s_waitcnt vmcnt(1)
	v_and_b32_e32 v2, v6, v34
	v_and_b32_e32 v6, v7, v35
	s_waitcnt vmcnt(0)
	v_mad_u64_u32 v[2:3], null, v2, 24, v[11:12]
	v_mad_u64_u32 v[6:7], null, v6, 24, v[3:4]
	v_mov_b32_e32 v3, v6
	global_load_dwordx2 v[32:33], v[2:3], off glc dlc
	s_waitcnt vmcnt(0)
	global_atomic_cmpswap_x2 v[2:3], v13, v[32:35], s[38:39] offset:24 glc
	s_waitcnt vmcnt(0)
	buffer_gl1_inv
	buffer_gl0_inv
	v_cmp_eq_u64_e32 vcc_lo, v[2:3], v[34:35]
	s_or_b32 s19, vcc_lo, s19
	s_andn2_b32 exec_lo, exec_lo, s19
	s_cbranch_execnz .LBB3_733
; %bb.734:                              ;   in Loop: Header=BB3_681 Depth=1
	s_or_b32 exec_lo, exec_lo, s19
.LBB3_735:                              ;   in Loop: Header=BB3_681 Depth=1
	s_or_b32 exec_lo, exec_lo, s18
.LBB3_736:                              ;   in Loop: Header=BB3_681 Depth=1
	s_or_b32 exec_lo, exec_lo, s5
	s_clause 0x1
	global_load_dwordx2 v[6:7], v13, s[38:39] offset:40
	global_load_dwordx4 v[32:35], v13, s[38:39]
	v_readfirstlane_b32 s18, v2
	v_readfirstlane_b32 s19, v3
	s_mov_b32 s5, exec_lo
	s_waitcnt vmcnt(1)
	v_readfirstlane_b32 s20, v6
	v_readfirstlane_b32 s21, v7
	s_and_b64 s[20:21], s[18:19], s[20:21]
	s_mul_i32 s22, s21, 24
	s_mul_hi_u32 s23, s20, 24
	s_mul_i32 s24, s20, 24
	s_add_i32 s23, s23, s22
	s_waitcnt vmcnt(0)
	v_add_co_u32 v2, vcc_lo, v32, s24
	v_add_co_ci_u32_e32 v3, vcc_lo, s23, v33, vcc_lo
	s_and_saveexec_b32 s22, s4
	s_cbranch_execz .LBB3_738
; %bb.737:                              ;   in Loop: Header=BB3_681 Depth=1
	v_mov_b32_e32 v12, s5
	global_store_dwordx4 v[2:3], v[12:15], off offset:8
.LBB3_738:                              ;   in Loop: Header=BB3_681 Depth=1
	s_or_b32 exec_lo, exec_lo, s22
	s_lshl_b64 s[20:21], s[20:21], 12
	v_cmp_gt_u64_e64 vcc_lo, s[10:11], 56
	v_or_b32_e32 v6, 0, v10
	v_or_b32_e32 v7, v9, v38
	v_add_co_u32 v34, s5, v34, s20
	v_add_co_ci_u32_e64 v35, s5, s21, v35, s5
	s_lshl_b32 s5, s16, 2
	v_cndmask_b32_e32 v17, v6, v10, vcc_lo
	v_cndmask_b32_e32 v6, v7, v9, vcc_lo
	s_add_i32 s5, s5, 28
	v_readfirstlane_b32 s20, v34
	s_and_b32 s5, s5, 0x1e0
	v_readfirstlane_b32 s21, v35
	v_and_or_b32 v16, 0xffffff1f, v6, s5
	global_store_dwordx4 v50, v[16:19], s[20:21]
	global_store_dwordx4 v50, v[20:23], s[20:21] offset:16
	global_store_dwordx4 v50, v[24:27], s[20:21] offset:32
	;; [unrolled: 1-line block ×3, first 2 shown]
	s_and_saveexec_b32 s5, s4
	s_cbranch_execz .LBB3_746
; %bb.739:                              ;   in Loop: Header=BB3_681 Depth=1
	s_clause 0x1
	global_load_dwordx2 v[18:19], v13, s[38:39] offset:32 glc dlc
	global_load_dwordx2 v[6:7], v13, s[38:39] offset:40
	v_mov_b32_e32 v16, s18
	v_mov_b32_e32 v17, s19
	s_waitcnt vmcnt(0)
	v_readfirstlane_b32 s20, v6
	v_readfirstlane_b32 s21, v7
	s_and_b64 s[20:21], s[20:21], s[18:19]
	s_mul_i32 s21, s21, 24
	s_mul_hi_u32 s22, s20, 24
	s_mul_i32 s20, s20, 24
	s_add_i32 s22, s22, s21
	v_add_co_u32 v6, vcc_lo, v32, s20
	v_add_co_ci_u32_e32 v7, vcc_lo, s22, v33, vcc_lo
	s_mov_b32 s20, exec_lo
	global_store_dwordx2 v[6:7], v[18:19], off
	s_waitcnt_vscnt null, 0x0
	global_atomic_cmpswap_x2 v[11:12], v13, v[16:19], s[38:39] offset:32 glc
	s_waitcnt vmcnt(0)
	v_cmpx_ne_u64_e64 v[11:12], v[18:19]
	s_cbranch_execz .LBB3_742
; %bb.740:                              ;   in Loop: Header=BB3_681 Depth=1
	s_mov_b32 s21, 0
.LBB3_741:                              ;   Parent Loop BB3_681 Depth=1
                                        ; =>  This Inner Loop Header: Depth=2
	v_mov_b32_e32 v9, s18
	v_mov_b32_e32 v10, s19
	s_sleep 1
	global_store_dwordx2 v[6:7], v[11:12], off
	s_waitcnt_vscnt null, 0x0
	global_atomic_cmpswap_x2 v[9:10], v13, v[9:12], s[38:39] offset:32 glc
	s_waitcnt vmcnt(0)
	v_cmp_eq_u64_e32 vcc_lo, v[9:10], v[11:12]
	v_mov_b32_e32 v12, v10
	v_mov_b32_e32 v11, v9
	s_or_b32 s21, vcc_lo, s21
	s_andn2_b32 exec_lo, exec_lo, s21
	s_cbranch_execnz .LBB3_741
.LBB3_742:                              ;   in Loop: Header=BB3_681 Depth=1
	s_or_b32 exec_lo, exec_lo, s20
	global_load_dwordx2 v[6:7], v13, s[38:39] offset:16
	s_mov_b32 s21, exec_lo
	s_mov_b32 s20, exec_lo
	v_mbcnt_lo_u32_b32 v9, s21, 0
	v_cmpx_eq_u32_e32 0, v9
	s_cbranch_execz .LBB3_744
; %bb.743:                              ;   in Loop: Header=BB3_681 Depth=1
	s_bcnt1_i32_b32 s21, s21
	v_mov_b32_e32 v12, s21
	s_waitcnt vmcnt(0)
	global_atomic_add_x2 v[6:7], v[12:13], off offset:8
.LBB3_744:                              ;   in Loop: Header=BB3_681 Depth=1
	s_or_b32 exec_lo, exec_lo, s20
	s_waitcnt vmcnt(0)
	global_load_dwordx2 v[9:10], v[6:7], off offset:16
	s_waitcnt vmcnt(0)
	v_cmp_eq_u64_e32 vcc_lo, 0, v[9:10]
	s_cbranch_vccnz .LBB3_746
; %bb.745:                              ;   in Loop: Header=BB3_681 Depth=1
	global_load_dword v12, v[6:7], off offset:24
	s_waitcnt vmcnt(0)
	v_and_b32_e32 v6, 0x7fffff, v12
	s_waitcnt_vscnt null, 0x0
	global_store_dwordx2 v[9:10], v[12:13], off
	v_readfirstlane_b32 m0, v6
	s_sendmsg sendmsg(MSG_INTERRUPT)
.LBB3_746:                              ;   in Loop: Header=BB3_681 Depth=1
	s_or_b32 exec_lo, exec_lo, s5
	v_add_co_u32 v6, vcc_lo, v34, v50
	v_add_co_ci_u32_e32 v7, vcc_lo, 0, v35, vcc_lo
	s_branch .LBB3_750
	.p2align	6
.LBB3_747:                              ;   in Loop: Header=BB3_750 Depth=2
	s_or_b32 exec_lo, exec_lo, s5
	v_readfirstlane_b32 s5, v9
	s_cmp_eq_u32 s5, 0
	s_cbranch_scc1 .LBB3_749
; %bb.748:                              ;   in Loop: Header=BB3_750 Depth=2
	s_sleep 1
	s_cbranch_execnz .LBB3_750
	s_branch .LBB3_752
	.p2align	6
.LBB3_749:                              ;   in Loop: Header=BB3_681 Depth=1
	s_branch .LBB3_752
.LBB3_750:                              ;   Parent Loop BB3_681 Depth=1
                                        ; =>  This Inner Loop Header: Depth=2
	v_mov_b32_e32 v9, 1
	s_and_saveexec_b32 s5, s4
	s_cbranch_execz .LBB3_747
; %bb.751:                              ;   in Loop: Header=BB3_750 Depth=2
	global_load_dword v9, v[2:3], off offset:20 glc dlc
	s_waitcnt vmcnt(0)
	buffer_gl1_inv
	buffer_gl0_inv
	v_and_b32_e32 v9, 1, v9
	s_branch .LBB3_747
.LBB3_752:                              ;   in Loop: Header=BB3_681 Depth=1
	global_load_dwordx4 v[9:12], v[6:7], off
	s_and_saveexec_b32 s5, s4
	s_cbranch_execz .LBB3_680
; %bb.753:                              ;   in Loop: Header=BB3_681 Depth=1
	s_clause 0x2
	global_load_dwordx2 v[2:3], v13, s[38:39] offset:40
	global_load_dwordx2 v[6:7], v13, s[38:39] offset:24 glc dlc
	global_load_dwordx2 v[11:12], v13, s[38:39]
	s_waitcnt vmcnt(2)
	v_add_co_u32 v18, vcc_lo, v2, 1
	v_add_co_ci_u32_e32 v19, vcc_lo, 0, v3, vcc_lo
	v_add_co_u32 v16, vcc_lo, v18, s18
	v_add_co_ci_u32_e32 v17, vcc_lo, s19, v19, vcc_lo
	v_cmp_eq_u64_e32 vcc_lo, 0, v[16:17]
	v_cndmask_b32_e32 v17, v17, v19, vcc_lo
	v_cndmask_b32_e32 v16, v16, v18, vcc_lo
	s_waitcnt vmcnt(1)
	v_mov_b32_e32 v19, v7
	v_and_b32_e32 v3, v17, v3
	v_and_b32_e32 v2, v16, v2
	v_mul_lo_u32 v3, v3, 24
	v_mul_hi_u32 v18, v2, 24
	v_mul_lo_u32 v2, v2, 24
	v_add_nc_u32_e32 v3, v18, v3
	s_waitcnt vmcnt(0)
	v_add_co_u32 v2, vcc_lo, v11, v2
	v_mov_b32_e32 v18, v6
	v_add_co_ci_u32_e32 v3, vcc_lo, v12, v3, vcc_lo
	global_store_dwordx2 v[2:3], v[6:7], off
	s_waitcnt_vscnt null, 0x0
	global_atomic_cmpswap_x2 v[18:19], v13, v[16:19], s[38:39] offset:24 glc
	s_waitcnt vmcnt(0)
	v_cmp_ne_u64_e32 vcc_lo, v[18:19], v[6:7]
	s_and_b32 exec_lo, exec_lo, vcc_lo
	s_cbranch_execz .LBB3_680
; %bb.754:                              ;   in Loop: Header=BB3_681 Depth=1
	s_mov_b32 s4, 0
.LBB3_755:                              ;   Parent Loop BB3_681 Depth=1
                                        ; =>  This Inner Loop Header: Depth=2
	s_sleep 1
	global_store_dwordx2 v[2:3], v[18:19], off
	s_waitcnt_vscnt null, 0x0
	global_atomic_cmpswap_x2 v[6:7], v13, v[16:19], s[38:39] offset:24 glc
	s_waitcnt vmcnt(0)
	v_cmp_eq_u64_e32 vcc_lo, v[6:7], v[18:19]
	v_mov_b32_e32 v19, v7
	v_mov_b32_e32 v18, v6
	s_or_b32 s4, vcc_lo, s4
	s_andn2_b32 exec_lo, exec_lo, s4
	s_cbranch_execnz .LBB3_755
	s_branch .LBB3_680
.LBB3_756:
	s_branch .LBB3_785
.LBB3_757:
                                        ; implicit-def: $vgpr9_vgpr10
	s_cbranch_execz .LBB3_785
; %bb.758:
	v_readfirstlane_b32 s4, v51
	v_mov_b32_e32 v6, 0
	v_mov_b32_e32 v7, 0
	v_cmp_eq_u32_e64 s4, s4, v51
	s_and_saveexec_b32 s5, s4
	s_cbranch_execz .LBB3_764
; %bb.759:
	v_mov_b32_e32 v2, 0
	s_mov_b32 s6, exec_lo
	global_load_dwordx2 v[11:12], v2, s[38:39] offset:24 glc dlc
	s_waitcnt vmcnt(0)
	buffer_gl1_inv
	buffer_gl0_inv
	s_clause 0x1
	global_load_dwordx2 v[6:7], v2, s[38:39] offset:40
	global_load_dwordx2 v[9:10], v2, s[38:39]
	s_waitcnt vmcnt(1)
	v_and_b32_e32 v3, v7, v12
	v_and_b32_e32 v6, v6, v11
	v_mul_lo_u32 v3, v3, 24
	v_mul_hi_u32 v7, v6, 24
	v_mul_lo_u32 v6, v6, 24
	v_add_nc_u32_e32 v3, v7, v3
	s_waitcnt vmcnt(0)
	v_add_co_u32 v6, vcc_lo, v9, v6
	v_add_co_ci_u32_e32 v7, vcc_lo, v10, v3, vcc_lo
	global_load_dwordx2 v[9:10], v[6:7], off glc dlc
	s_waitcnt vmcnt(0)
	global_atomic_cmpswap_x2 v[6:7], v2, v[9:12], s[38:39] offset:24 glc
	s_waitcnt vmcnt(0)
	buffer_gl1_inv
	buffer_gl0_inv
	v_cmpx_ne_u64_e64 v[6:7], v[11:12]
	s_cbranch_execz .LBB3_763
; %bb.760:
	s_mov_b32 s7, 0
	.p2align	6
.LBB3_761:                              ; =>This Inner Loop Header: Depth=1
	s_sleep 1
	s_clause 0x1
	global_load_dwordx2 v[9:10], v2, s[38:39] offset:40
	global_load_dwordx2 v[13:14], v2, s[38:39]
	v_mov_b32_e32 v12, v7
	v_mov_b32_e32 v11, v6
	s_waitcnt vmcnt(1)
	v_and_b32_e32 v3, v9, v11
	v_and_b32_e32 v9, v10, v12
	s_waitcnt vmcnt(0)
	v_mad_u64_u32 v[6:7], null, v3, 24, v[13:14]
	v_mov_b32_e32 v3, v7
	v_mad_u64_u32 v[9:10], null, v9, 24, v[3:4]
	v_mov_b32_e32 v7, v9
	global_load_dwordx2 v[9:10], v[6:7], off glc dlc
	s_waitcnt vmcnt(0)
	global_atomic_cmpswap_x2 v[6:7], v2, v[9:12], s[38:39] offset:24 glc
	s_waitcnt vmcnt(0)
	buffer_gl1_inv
	buffer_gl0_inv
	v_cmp_eq_u64_e32 vcc_lo, v[6:7], v[11:12]
	s_or_b32 s7, vcc_lo, s7
	s_andn2_b32 exec_lo, exec_lo, s7
	s_cbranch_execnz .LBB3_761
; %bb.762:
	s_or_b32 exec_lo, exec_lo, s7
.LBB3_763:
	s_or_b32 exec_lo, exec_lo, s6
.LBB3_764:
	s_or_b32 exec_lo, exec_lo, s5
	v_mov_b32_e32 v2, 0
	v_readfirstlane_b32 s6, v6
	v_readfirstlane_b32 s7, v7
	s_mov_b32 s5, exec_lo
	s_clause 0x1
	global_load_dwordx2 v[13:14], v2, s[38:39] offset:40
	global_load_dwordx4 v[9:12], v2, s[38:39]
	s_waitcnt vmcnt(1)
	v_readfirstlane_b32 s10, v13
	v_readfirstlane_b32 s11, v14
	s_and_b64 s[10:11], s[6:7], s[10:11]
	s_mul_i32 s16, s11, 24
	s_mul_hi_u32 s17, s10, 24
	s_mul_i32 s18, s10, 24
	s_add_i32 s17, s17, s16
	s_waitcnt vmcnt(0)
	v_add_co_u32 v6, vcc_lo, v9, s18
	v_add_co_ci_u32_e32 v7, vcc_lo, s17, v10, vcc_lo
	s_and_saveexec_b32 s16, s4
	s_cbranch_execz .LBB3_766
; %bb.765:
	v_mov_b32_e32 v13, s5
	v_mov_b32_e32 v14, v2
	;; [unrolled: 1-line block ×4, first 2 shown]
	global_store_dwordx4 v[6:7], v[13:16], off offset:8
.LBB3_766:
	s_or_b32 exec_lo, exec_lo, s16
	s_lshl_b64 s[10:11], s[10:11], 12
	s_mov_b32 s16, 0
	v_add_co_u32 v11, vcc_lo, v11, s10
	v_add_co_ci_u32_e32 v12, vcc_lo, s11, v12, vcc_lo
	s_mov_b32 s17, s16
	v_readfirstlane_b32 s10, v11
	v_add_co_u32 v11, vcc_lo, v11, v50
	s_mov_b32 s18, s16
	s_mov_b32 s19, s16
	v_and_or_b32 v0, 0xffffff1f, v0, 32
	v_mov_b32_e32 v3, v2
	v_readfirstlane_b32 s11, v12
	v_mov_b32_e32 v13, s16
	v_add_co_ci_u32_e32 v12, vcc_lo, 0, v12, vcc_lo
	v_mov_b32_e32 v14, s17
	v_mov_b32_e32 v15, s18
	;; [unrolled: 1-line block ×3, first 2 shown]
	global_store_dwordx4 v50, v[0:3], s[10:11]
	global_store_dwordx4 v50, v[13:16], s[10:11] offset:16
	global_store_dwordx4 v50, v[13:16], s[10:11] offset:32
	;; [unrolled: 1-line block ×3, first 2 shown]
	s_and_saveexec_b32 s5, s4
	s_cbranch_execz .LBB3_774
; %bb.767:
	v_mov_b32_e32 v13, 0
	v_mov_b32_e32 v14, s6
	v_mov_b32_e32 v15, s7
	s_clause 0x1
	global_load_dwordx2 v[16:17], v13, s[38:39] offset:32 glc dlc
	global_load_dwordx2 v[0:1], v13, s[38:39] offset:40
	s_waitcnt vmcnt(0)
	v_readfirstlane_b32 s10, v0
	v_readfirstlane_b32 s11, v1
	s_and_b64 s[10:11], s[10:11], s[6:7]
	s_mul_i32 s11, s11, 24
	s_mul_hi_u32 s16, s10, 24
	s_mul_i32 s10, s10, 24
	s_add_i32 s16, s16, s11
	v_add_co_u32 v9, vcc_lo, v9, s10
	v_add_co_ci_u32_e32 v10, vcc_lo, s16, v10, vcc_lo
	s_mov_b32 s10, exec_lo
	global_store_dwordx2 v[9:10], v[16:17], off
	s_waitcnt_vscnt null, 0x0
	global_atomic_cmpswap_x2 v[2:3], v13, v[14:17], s[38:39] offset:32 glc
	s_waitcnt vmcnt(0)
	v_cmpx_ne_u64_e64 v[2:3], v[16:17]
	s_cbranch_execz .LBB3_770
; %bb.768:
	s_mov_b32 s11, 0
.LBB3_769:                              ; =>This Inner Loop Header: Depth=1
	v_mov_b32_e32 v0, s6
	v_mov_b32_e32 v1, s7
	s_sleep 1
	global_store_dwordx2 v[9:10], v[2:3], off
	s_waitcnt_vscnt null, 0x0
	global_atomic_cmpswap_x2 v[0:1], v13, v[0:3], s[38:39] offset:32 glc
	s_waitcnt vmcnt(0)
	v_cmp_eq_u64_e32 vcc_lo, v[0:1], v[2:3]
	v_mov_b32_e32 v3, v1
	v_mov_b32_e32 v2, v0
	s_or_b32 s11, vcc_lo, s11
	s_andn2_b32 exec_lo, exec_lo, s11
	s_cbranch_execnz .LBB3_769
.LBB3_770:
	s_or_b32 exec_lo, exec_lo, s10
	v_mov_b32_e32 v3, 0
	s_mov_b32 s11, exec_lo
	s_mov_b32 s10, exec_lo
	v_mbcnt_lo_u32_b32 v2, s11, 0
	global_load_dwordx2 v[0:1], v3, s[38:39] offset:16
	v_cmpx_eq_u32_e32 0, v2
	s_cbranch_execz .LBB3_772
; %bb.771:
	s_bcnt1_i32_b32 s11, s11
	v_mov_b32_e32 v2, s11
	s_waitcnt vmcnt(0)
	global_atomic_add_x2 v[0:1], v[2:3], off offset:8
.LBB3_772:
	s_or_b32 exec_lo, exec_lo, s10
	s_waitcnt vmcnt(0)
	global_load_dwordx2 v[2:3], v[0:1], off offset:16
	s_waitcnt vmcnt(0)
	v_cmp_eq_u64_e32 vcc_lo, 0, v[2:3]
	s_cbranch_vccnz .LBB3_774
; %bb.773:
	global_load_dword v0, v[0:1], off offset:24
	v_mov_b32_e32 v1, 0
	s_waitcnt vmcnt(0)
	v_and_b32_e32 v9, 0x7fffff, v0
	s_waitcnt_vscnt null, 0x0
	global_store_dwordx2 v[2:3], v[0:1], off
	v_readfirstlane_b32 m0, v9
	s_sendmsg sendmsg(MSG_INTERRUPT)
.LBB3_774:
	s_or_b32 exec_lo, exec_lo, s5
	s_branch .LBB3_778
	.p2align	6
.LBB3_775:                              ;   in Loop: Header=BB3_778 Depth=1
	s_or_b32 exec_lo, exec_lo, s5
	v_readfirstlane_b32 s5, v0
	s_cmp_eq_u32 s5, 0
	s_cbranch_scc1 .LBB3_777
; %bb.776:                              ;   in Loop: Header=BB3_778 Depth=1
	s_sleep 1
	s_cbranch_execnz .LBB3_778
	s_branch .LBB3_780
	.p2align	6
.LBB3_777:
	s_branch .LBB3_780
.LBB3_778:                              ; =>This Inner Loop Header: Depth=1
	v_mov_b32_e32 v0, 1
	s_and_saveexec_b32 s5, s4
	s_cbranch_execz .LBB3_775
; %bb.779:                              ;   in Loop: Header=BB3_778 Depth=1
	global_load_dword v0, v[6:7], off offset:20 glc dlc
	s_waitcnt vmcnt(0)
	buffer_gl1_inv
	buffer_gl0_inv
	v_and_b32_e32 v0, 1, v0
	s_branch .LBB3_775
.LBB3_780:
	global_load_dwordx2 v[9:10], v[11:12], off
	s_and_saveexec_b32 s5, s4
	s_cbranch_execz .LBB3_784
; %bb.781:
	v_mov_b32_e32 v11, 0
	s_clause 0x2
	global_load_dwordx2 v[2:3], v11, s[38:39] offset:40
	global_load_dwordx2 v[12:13], v11, s[38:39] offset:24 glc dlc
	global_load_dwordx2 v[6:7], v11, s[38:39]
	s_waitcnt vmcnt(2)
	v_add_co_u32 v14, vcc_lo, v2, 1
	v_add_co_ci_u32_e32 v15, vcc_lo, 0, v3, vcc_lo
	v_add_co_u32 v0, vcc_lo, v14, s6
	v_add_co_ci_u32_e32 v1, vcc_lo, s7, v15, vcc_lo
	v_cmp_eq_u64_e32 vcc_lo, 0, v[0:1]
	v_cndmask_b32_e32 v1, v1, v15, vcc_lo
	v_cndmask_b32_e32 v0, v0, v14, vcc_lo
	v_and_b32_e32 v3, v1, v3
	v_and_b32_e32 v2, v0, v2
	v_mul_lo_u32 v3, v3, 24
	v_mul_hi_u32 v14, v2, 24
	v_mul_lo_u32 v2, v2, 24
	v_add_nc_u32_e32 v3, v14, v3
	s_waitcnt vmcnt(0)
	v_add_co_u32 v6, vcc_lo, v6, v2
	v_mov_b32_e32 v2, v12
	v_add_co_ci_u32_e32 v7, vcc_lo, v7, v3, vcc_lo
	v_mov_b32_e32 v3, v13
	global_store_dwordx2 v[6:7], v[12:13], off
	s_waitcnt_vscnt null, 0x0
	global_atomic_cmpswap_x2 v[2:3], v11, v[0:3], s[38:39] offset:24 glc
	s_waitcnt vmcnt(0)
	v_cmp_ne_u64_e32 vcc_lo, v[2:3], v[12:13]
	s_and_b32 exec_lo, exec_lo, vcc_lo
	s_cbranch_execz .LBB3_784
; %bb.782:
	s_mov_b32 s4, 0
.LBB3_783:                              ; =>This Inner Loop Header: Depth=1
	s_sleep 1
	global_store_dwordx2 v[6:7], v[2:3], off
	s_waitcnt_vscnt null, 0x0
	global_atomic_cmpswap_x2 v[12:13], v11, v[0:3], s[38:39] offset:24 glc
	s_waitcnt vmcnt(0)
	v_cmp_eq_u64_e32 vcc_lo, v[12:13], v[2:3]
	v_mov_b32_e32 v2, v12
	v_mov_b32_e32 v3, v13
	s_or_b32 s4, vcc_lo, s4
	s_andn2_b32 exec_lo, exec_lo, s4
	s_cbranch_execnz .LBB3_783
.LBB3_784:
	s_or_b32 exec_lo, exec_lo, s5
.LBB3_785:
	v_readfirstlane_b32 s4, v51
	v_mov_b32_e32 v6, 0
	v_mov_b32_e32 v7, 0
	v_cmp_eq_u32_e64 s4, s4, v51
	s_and_saveexec_b32 s5, s4
	s_cbranch_execz .LBB3_791
; %bb.786:
	s_waitcnt vmcnt(0)
	v_mov_b32_e32 v0, 0
	s_mov_b32 s6, exec_lo
	global_load_dwordx2 v[13:14], v0, s[38:39] offset:24 glc dlc
	s_waitcnt vmcnt(0)
	buffer_gl1_inv
	buffer_gl0_inv
	s_clause 0x1
	global_load_dwordx2 v[1:2], v0, s[38:39] offset:40
	global_load_dwordx2 v[6:7], v0, s[38:39]
	s_waitcnt vmcnt(1)
	v_and_b32_e32 v2, v2, v14
	v_and_b32_e32 v1, v1, v13
	v_mul_lo_u32 v2, v2, 24
	v_mul_hi_u32 v3, v1, 24
	v_mul_lo_u32 v1, v1, 24
	v_add_nc_u32_e32 v2, v3, v2
	s_waitcnt vmcnt(0)
	v_add_co_u32 v1, vcc_lo, v6, v1
	v_add_co_ci_u32_e32 v2, vcc_lo, v7, v2, vcc_lo
	global_load_dwordx2 v[11:12], v[1:2], off glc dlc
	s_waitcnt vmcnt(0)
	global_atomic_cmpswap_x2 v[6:7], v0, v[11:14], s[38:39] offset:24 glc
	s_waitcnt vmcnt(0)
	buffer_gl1_inv
	buffer_gl0_inv
	v_cmpx_ne_u64_e64 v[6:7], v[13:14]
	s_cbranch_execz .LBB3_790
; %bb.787:
	s_mov_b32 s7, 0
	.p2align	6
.LBB3_788:                              ; =>This Inner Loop Header: Depth=1
	s_sleep 1
	s_clause 0x1
	global_load_dwordx2 v[1:2], v0, s[38:39] offset:40
	global_load_dwordx2 v[11:12], v0, s[38:39]
	v_mov_b32_e32 v14, v7
	v_mov_b32_e32 v13, v6
	s_waitcnt vmcnt(1)
	v_and_b32_e32 v1, v1, v13
	v_and_b32_e32 v2, v2, v14
	s_waitcnt vmcnt(0)
	v_mad_u64_u32 v[6:7], null, v1, 24, v[11:12]
	v_mov_b32_e32 v1, v7
	v_mad_u64_u32 v[1:2], null, v2, 24, v[1:2]
	v_mov_b32_e32 v7, v1
	global_load_dwordx2 v[11:12], v[6:7], off glc dlc
	s_waitcnt vmcnt(0)
	global_atomic_cmpswap_x2 v[6:7], v0, v[11:14], s[38:39] offset:24 glc
	s_waitcnt vmcnt(0)
	buffer_gl1_inv
	buffer_gl0_inv
	v_cmp_eq_u64_e32 vcc_lo, v[6:7], v[13:14]
	s_or_b32 s7, vcc_lo, s7
	s_andn2_b32 exec_lo, exec_lo, s7
	s_cbranch_execnz .LBB3_788
; %bb.789:
	s_or_b32 exec_lo, exec_lo, s7
.LBB3_790:
	s_or_b32 exec_lo, exec_lo, s6
.LBB3_791:
	s_or_b32 exec_lo, exec_lo, s5
	s_waitcnt vmcnt(0)
	v_mov_b32_e32 v12, 0
	v_readfirstlane_b32 s6, v6
	v_readfirstlane_b32 s7, v7
	s_mov_b32 s5, exec_lo
	s_clause 0x1
	global_load_dwordx2 v[13:14], v12, s[38:39] offset:40
	global_load_dwordx4 v[0:3], v12, s[38:39]
	s_waitcnt vmcnt(1)
	v_readfirstlane_b32 s10, v13
	v_readfirstlane_b32 s11, v14
	s_and_b64 s[10:11], s[6:7], s[10:11]
	s_mul_i32 s16, s11, 24
	s_mul_hi_u32 s17, s10, 24
	s_mul_i32 s18, s10, 24
	s_add_i32 s17, s17, s16
	s_waitcnt vmcnt(0)
	v_add_co_u32 v6, vcc_lo, v0, s18
	v_add_co_ci_u32_e32 v7, vcc_lo, s17, v1, vcc_lo
	s_and_saveexec_b32 s16, s4
	s_cbranch_execz .LBB3_793
; %bb.792:
	v_mov_b32_e32 v11, s5
	v_mov_b32_e32 v14, v12
	;; [unrolled: 1-line block ×5, first 2 shown]
	global_store_dwordx4 v[6:7], v[13:16], off offset:8
.LBB3_793:
	s_or_b32 exec_lo, exec_lo, s16
	s_lshl_b64 s[10:11], s[10:11], 12
	s_mov_b32 s16, 0
	v_add_co_u32 v2, vcc_lo, v2, s10
	v_add_co_ci_u32_e32 v3, vcc_lo, s11, v3, vcc_lo
	s_mov_b32 s17, s16
	s_mov_b32 s18, s16
	;; [unrolled: 1-line block ×3, first 2 shown]
	v_and_or_b32 v9, 0xffffff1d, v9, 34
	v_mov_b32_e32 v11, 58
	v_readfirstlane_b32 s10, v2
	v_readfirstlane_b32 s11, v3
	v_mov_b32_e32 v13, s16
	v_mov_b32_e32 v14, s17
	;; [unrolled: 1-line block ×4, first 2 shown]
	global_store_dwordx4 v50, v[9:12], s[10:11]
	global_store_dwordx4 v50, v[13:16], s[10:11] offset:16
	global_store_dwordx4 v50, v[13:16], s[10:11] offset:32
	;; [unrolled: 1-line block ×3, first 2 shown]
	s_and_saveexec_b32 s5, s4
	s_cbranch_execz .LBB3_801
; %bb.794:
	v_mov_b32_e32 v11, 0
	v_mov_b32_e32 v12, s6
	;; [unrolled: 1-line block ×3, first 2 shown]
	s_clause 0x1
	global_load_dwordx2 v[14:15], v11, s[38:39] offset:32 glc dlc
	global_load_dwordx2 v[2:3], v11, s[38:39] offset:40
	s_waitcnt vmcnt(0)
	v_readfirstlane_b32 s10, v2
	v_readfirstlane_b32 s11, v3
	s_and_b64 s[10:11], s[10:11], s[6:7]
	s_mul_i32 s11, s11, 24
	s_mul_hi_u32 s16, s10, 24
	s_mul_i32 s10, s10, 24
	s_add_i32 s16, s16, s11
	v_add_co_u32 v9, vcc_lo, v0, s10
	v_add_co_ci_u32_e32 v10, vcc_lo, s16, v1, vcc_lo
	s_mov_b32 s10, exec_lo
	global_store_dwordx2 v[9:10], v[14:15], off
	s_waitcnt_vscnt null, 0x0
	global_atomic_cmpswap_x2 v[2:3], v11, v[12:15], s[38:39] offset:32 glc
	s_waitcnt vmcnt(0)
	v_cmpx_ne_u64_e64 v[2:3], v[14:15]
	s_cbranch_execz .LBB3_797
; %bb.795:
	s_mov_b32 s11, 0
.LBB3_796:                              ; =>This Inner Loop Header: Depth=1
	v_mov_b32_e32 v0, s6
	v_mov_b32_e32 v1, s7
	s_sleep 1
	global_store_dwordx2 v[9:10], v[2:3], off
	s_waitcnt_vscnt null, 0x0
	global_atomic_cmpswap_x2 v[0:1], v11, v[0:3], s[38:39] offset:32 glc
	s_waitcnt vmcnt(0)
	v_cmp_eq_u64_e32 vcc_lo, v[0:1], v[2:3]
	v_mov_b32_e32 v3, v1
	v_mov_b32_e32 v2, v0
	s_or_b32 s11, vcc_lo, s11
	s_andn2_b32 exec_lo, exec_lo, s11
	s_cbranch_execnz .LBB3_796
.LBB3_797:
	s_or_b32 exec_lo, exec_lo, s10
	v_mov_b32_e32 v3, 0
	s_mov_b32 s11, exec_lo
	s_mov_b32 s10, exec_lo
	v_mbcnt_lo_u32_b32 v2, s11, 0
	global_load_dwordx2 v[0:1], v3, s[38:39] offset:16
	v_cmpx_eq_u32_e32 0, v2
	s_cbranch_execz .LBB3_799
; %bb.798:
	s_bcnt1_i32_b32 s11, s11
	v_mov_b32_e32 v2, s11
	s_waitcnt vmcnt(0)
	global_atomic_add_x2 v[0:1], v[2:3], off offset:8
.LBB3_799:
	s_or_b32 exec_lo, exec_lo, s10
	s_waitcnt vmcnt(0)
	global_load_dwordx2 v[2:3], v[0:1], off offset:16
	s_waitcnt vmcnt(0)
	v_cmp_eq_u64_e32 vcc_lo, 0, v[2:3]
	s_cbranch_vccnz .LBB3_801
; %bb.800:
	global_load_dword v0, v[0:1], off offset:24
	v_mov_b32_e32 v1, 0
	s_waitcnt vmcnt(0)
	v_and_b32_e32 v9, 0x7fffff, v0
	s_waitcnt_vscnt null, 0x0
	global_store_dwordx2 v[2:3], v[0:1], off
	v_readfirstlane_b32 m0, v9
	s_sendmsg sendmsg(MSG_INTERRUPT)
.LBB3_801:
	s_or_b32 exec_lo, exec_lo, s5
	s_branch .LBB3_805
	.p2align	6
.LBB3_802:                              ;   in Loop: Header=BB3_805 Depth=1
	s_or_b32 exec_lo, exec_lo, s5
	v_readfirstlane_b32 s5, v0
	s_cmp_eq_u32 s5, 0
	s_cbranch_scc1 .LBB3_804
; %bb.803:                              ;   in Loop: Header=BB3_805 Depth=1
	s_sleep 1
	s_cbranch_execnz .LBB3_805
	s_branch .LBB3_807
	.p2align	6
.LBB3_804:
	s_branch .LBB3_807
.LBB3_805:                              ; =>This Inner Loop Header: Depth=1
	v_mov_b32_e32 v0, 1
	s_and_saveexec_b32 s5, s4
	s_cbranch_execz .LBB3_802
; %bb.806:                              ;   in Loop: Header=BB3_805 Depth=1
	global_load_dword v0, v[6:7], off offset:20 glc dlc
	s_waitcnt vmcnt(0)
	buffer_gl1_inv
	buffer_gl0_inv
	v_and_b32_e32 v0, 1, v0
	s_branch .LBB3_802
.LBB3_807:
	s_and_saveexec_b32 s5, s4
	s_cbranch_execz .LBB3_811
; %bb.808:
	v_mov_b32_e32 v9, 0
	s_clause 0x2
	global_load_dwordx2 v[2:3], v9, s[38:39] offset:40
	global_load_dwordx2 v[10:11], v9, s[38:39] offset:24 glc dlc
	global_load_dwordx2 v[6:7], v9, s[38:39]
	s_waitcnt vmcnt(2)
	v_add_co_u32 v12, vcc_lo, v2, 1
	v_add_co_ci_u32_e32 v13, vcc_lo, 0, v3, vcc_lo
	v_add_co_u32 v0, vcc_lo, v12, s6
	v_add_co_ci_u32_e32 v1, vcc_lo, s7, v13, vcc_lo
	v_cmp_eq_u64_e32 vcc_lo, 0, v[0:1]
	v_cndmask_b32_e32 v1, v1, v13, vcc_lo
	v_cndmask_b32_e32 v0, v0, v12, vcc_lo
	v_and_b32_e32 v3, v1, v3
	v_and_b32_e32 v2, v0, v2
	v_mul_lo_u32 v3, v3, 24
	v_mul_hi_u32 v12, v2, 24
	v_mul_lo_u32 v2, v2, 24
	v_add_nc_u32_e32 v3, v12, v3
	s_waitcnt vmcnt(0)
	v_add_co_u32 v6, vcc_lo, v6, v2
	v_mov_b32_e32 v2, v10
	v_add_co_ci_u32_e32 v7, vcc_lo, v7, v3, vcc_lo
	v_mov_b32_e32 v3, v11
	global_store_dwordx2 v[6:7], v[10:11], off
	s_waitcnt_vscnt null, 0x0
	global_atomic_cmpswap_x2 v[2:3], v9, v[0:3], s[38:39] offset:24 glc
	s_waitcnt vmcnt(0)
	v_cmp_ne_u64_e32 vcc_lo, v[2:3], v[10:11]
	s_and_b32 exec_lo, exec_lo, vcc_lo
	s_cbranch_execz .LBB3_811
; %bb.809:
	s_mov_b32 s4, 0
.LBB3_810:                              ; =>This Inner Loop Header: Depth=1
	s_sleep 1
	global_store_dwordx2 v[6:7], v[2:3], off
	s_waitcnt_vscnt null, 0x0
	global_atomic_cmpswap_x2 v[10:11], v9, v[0:3], s[38:39] offset:24 glc
	s_waitcnt vmcnt(0)
	v_cmp_eq_u64_e32 vcc_lo, v[10:11], v[2:3]
	v_mov_b32_e32 v2, v10
	v_mov_b32_e32 v3, v11
	s_or_b32 s4, vcc_lo, s4
	s_andn2_b32 exec_lo, exec_lo, s4
	s_cbranch_execnz .LBB3_810
.LBB3_811:
	s_or_b32 exec_lo, exec_lo, s5
	v_readfirstlane_b32 s4, v51
	v_mov_b32_e32 v6, 0
	v_mov_b32_e32 v7, 0
	v_cmp_eq_u32_e64 s4, s4, v51
	s_and_saveexec_b32 s5, s4
	s_cbranch_execz .LBB3_817
; %bb.812:
	v_mov_b32_e32 v0, 0
	s_mov_b32 s6, exec_lo
	global_load_dwordx2 v[11:12], v0, s[38:39] offset:24 glc dlc
	s_waitcnt vmcnt(0)
	buffer_gl1_inv
	buffer_gl0_inv
	s_clause 0x1
	global_load_dwordx2 v[1:2], v0, s[38:39] offset:40
	global_load_dwordx2 v[6:7], v0, s[38:39]
	s_waitcnt vmcnt(1)
	v_and_b32_e32 v2, v2, v12
	v_and_b32_e32 v1, v1, v11
	v_mul_lo_u32 v2, v2, 24
	v_mul_hi_u32 v3, v1, 24
	v_mul_lo_u32 v1, v1, 24
	v_add_nc_u32_e32 v2, v3, v2
	s_waitcnt vmcnt(0)
	v_add_co_u32 v1, vcc_lo, v6, v1
	v_add_co_ci_u32_e32 v2, vcc_lo, v7, v2, vcc_lo
	global_load_dwordx2 v[9:10], v[1:2], off glc dlc
	s_waitcnt vmcnt(0)
	global_atomic_cmpswap_x2 v[6:7], v0, v[9:12], s[38:39] offset:24 glc
	s_waitcnt vmcnt(0)
	buffer_gl1_inv
	buffer_gl0_inv
	v_cmpx_ne_u64_e64 v[6:7], v[11:12]
	s_cbranch_execz .LBB3_816
; %bb.813:
	s_mov_b32 s7, 0
	.p2align	6
.LBB3_814:                              ; =>This Inner Loop Header: Depth=1
	s_sleep 1
	s_clause 0x1
	global_load_dwordx2 v[1:2], v0, s[38:39] offset:40
	global_load_dwordx2 v[9:10], v0, s[38:39]
	v_mov_b32_e32 v12, v7
	v_mov_b32_e32 v11, v6
	s_waitcnt vmcnt(1)
	v_and_b32_e32 v1, v1, v11
	v_and_b32_e32 v2, v2, v12
	s_waitcnt vmcnt(0)
	v_mad_u64_u32 v[6:7], null, v1, 24, v[9:10]
	v_mov_b32_e32 v1, v7
	v_mad_u64_u32 v[1:2], null, v2, 24, v[1:2]
	v_mov_b32_e32 v7, v1
	global_load_dwordx2 v[9:10], v[6:7], off glc dlc
	s_waitcnt vmcnt(0)
	global_atomic_cmpswap_x2 v[6:7], v0, v[9:12], s[38:39] offset:24 glc
	s_waitcnt vmcnt(0)
	buffer_gl1_inv
	buffer_gl0_inv
	v_cmp_eq_u64_e32 vcc_lo, v[6:7], v[11:12]
	s_or_b32 s7, vcc_lo, s7
	s_andn2_b32 exec_lo, exec_lo, s7
	s_cbranch_execnz .LBB3_814
; %bb.815:
	s_or_b32 exec_lo, exec_lo, s7
.LBB3_816:
	s_or_b32 exec_lo, exec_lo, s6
.LBB3_817:
	s_or_b32 exec_lo, exec_lo, s5
	v_mov_b32_e32 v10, 0
	v_readfirstlane_b32 s6, v6
	v_readfirstlane_b32 s7, v7
	s_mov_b32 s5, exec_lo
	s_clause 0x1
	global_load_dwordx2 v[11:12], v10, s[38:39] offset:40
	global_load_dwordx4 v[0:3], v10, s[38:39]
	s_waitcnt vmcnt(1)
	v_readfirstlane_b32 s10, v11
	v_readfirstlane_b32 s11, v12
	s_and_b64 s[10:11], s[6:7], s[10:11]
	s_mul_i32 s16, s11, 24
	s_mul_hi_u32 s17, s10, 24
	s_mul_i32 s18, s10, 24
	s_add_i32 s17, s17, s16
	s_waitcnt vmcnt(0)
	v_add_co_u32 v6, vcc_lo, v0, s18
	v_add_co_ci_u32_e32 v7, vcc_lo, s17, v1, vcc_lo
	s_and_saveexec_b32 s16, s4
	s_cbranch_execz .LBB3_819
; %bb.818:
	v_mov_b32_e32 v9, s5
	v_mov_b32_e32 v11, 2
	;; [unrolled: 1-line block ×3, first 2 shown]
	global_store_dwordx4 v[6:7], v[9:12], off offset:8
.LBB3_819:
	s_or_b32 exec_lo, exec_lo, s16
	s_lshl_b64 s[10:11], s[10:11], 12
	s_mov_b32 s16, 0
	v_add_co_u32 v2, vcc_lo, v2, s10
	v_add_co_ci_u32_e32 v3, vcc_lo, s11, v3, vcc_lo
	s_mov_b32 s17, s16
	v_add_co_u32 v13, vcc_lo, v2, v50
	s_mov_b32 s18, s16
	s_mov_b32 s19, s16
	v_mov_b32_e32 v9, 33
	v_mov_b32_e32 v11, v10
	;; [unrolled: 1-line block ×3, first 2 shown]
	v_readfirstlane_b32 s10, v2
	v_readfirstlane_b32 s11, v3
	v_mov_b32_e32 v15, s16
	v_add_co_ci_u32_e32 v14, vcc_lo, 0, v3, vcc_lo
	v_mov_b32_e32 v16, s17
	v_mov_b32_e32 v17, s18
	;; [unrolled: 1-line block ×3, first 2 shown]
	global_store_dwordx4 v50, v[9:12], s[10:11]
	global_store_dwordx4 v50, v[15:18], s[10:11] offset:16
	global_store_dwordx4 v50, v[15:18], s[10:11] offset:32
	;; [unrolled: 1-line block ×3, first 2 shown]
	s_and_saveexec_b32 s5, s4
	s_cbranch_execz .LBB3_827
; %bb.820:
	v_mov_b32_e32 v11, 0
	v_mov_b32_e32 v15, s6
	;; [unrolled: 1-line block ×3, first 2 shown]
	s_clause 0x1
	global_load_dwordx2 v[17:18], v11, s[38:39] offset:32 glc dlc
	global_load_dwordx2 v[2:3], v11, s[38:39] offset:40
	s_waitcnt vmcnt(0)
	v_readfirstlane_b32 s10, v2
	v_readfirstlane_b32 s11, v3
	s_and_b64 s[10:11], s[10:11], s[6:7]
	s_mul_i32 s11, s11, 24
	s_mul_hi_u32 s16, s10, 24
	s_mul_i32 s10, s10, 24
	s_add_i32 s16, s16, s11
	v_add_co_u32 v9, vcc_lo, v0, s10
	v_add_co_ci_u32_e32 v10, vcc_lo, s16, v1, vcc_lo
	s_mov_b32 s10, exec_lo
	global_store_dwordx2 v[9:10], v[17:18], off
	s_waitcnt_vscnt null, 0x0
	global_atomic_cmpswap_x2 v[2:3], v11, v[15:18], s[38:39] offset:32 glc
	s_waitcnt vmcnt(0)
	v_cmpx_ne_u64_e64 v[2:3], v[17:18]
	s_cbranch_execz .LBB3_823
; %bb.821:
	s_mov_b32 s11, 0
.LBB3_822:                              ; =>This Inner Loop Header: Depth=1
	v_mov_b32_e32 v0, s6
	v_mov_b32_e32 v1, s7
	s_sleep 1
	global_store_dwordx2 v[9:10], v[2:3], off
	s_waitcnt_vscnt null, 0x0
	global_atomic_cmpswap_x2 v[0:1], v11, v[0:3], s[38:39] offset:32 glc
	s_waitcnt vmcnt(0)
	v_cmp_eq_u64_e32 vcc_lo, v[0:1], v[2:3]
	v_mov_b32_e32 v3, v1
	v_mov_b32_e32 v2, v0
	s_or_b32 s11, vcc_lo, s11
	s_andn2_b32 exec_lo, exec_lo, s11
	s_cbranch_execnz .LBB3_822
.LBB3_823:
	s_or_b32 exec_lo, exec_lo, s10
	v_mov_b32_e32 v3, 0
	s_mov_b32 s11, exec_lo
	s_mov_b32 s10, exec_lo
	v_mbcnt_lo_u32_b32 v2, s11, 0
	global_load_dwordx2 v[0:1], v3, s[38:39] offset:16
	v_cmpx_eq_u32_e32 0, v2
	s_cbranch_execz .LBB3_825
; %bb.824:
	s_bcnt1_i32_b32 s11, s11
	v_mov_b32_e32 v2, s11
	s_waitcnt vmcnt(0)
	global_atomic_add_x2 v[0:1], v[2:3], off offset:8
.LBB3_825:
	s_or_b32 exec_lo, exec_lo, s10
	s_waitcnt vmcnt(0)
	global_load_dwordx2 v[2:3], v[0:1], off offset:16
	s_waitcnt vmcnt(0)
	v_cmp_eq_u64_e32 vcc_lo, 0, v[2:3]
	s_cbranch_vccnz .LBB3_827
; %bb.826:
	global_load_dword v0, v[0:1], off offset:24
	v_mov_b32_e32 v1, 0
	s_waitcnt vmcnt(0)
	v_and_b32_e32 v9, 0x7fffff, v0
	s_waitcnt_vscnt null, 0x0
	global_store_dwordx2 v[2:3], v[0:1], off
	v_readfirstlane_b32 m0, v9
	s_sendmsg sendmsg(MSG_INTERRUPT)
.LBB3_827:
	s_or_b32 exec_lo, exec_lo, s5
	s_branch .LBB3_831
	.p2align	6
.LBB3_828:                              ;   in Loop: Header=BB3_831 Depth=1
	s_or_b32 exec_lo, exec_lo, s5
	v_readfirstlane_b32 s5, v0
	s_cmp_eq_u32 s5, 0
	s_cbranch_scc1 .LBB3_830
; %bb.829:                              ;   in Loop: Header=BB3_831 Depth=1
	s_sleep 1
	s_cbranch_execnz .LBB3_831
	s_branch .LBB3_833
	.p2align	6
.LBB3_830:
	s_branch .LBB3_833
.LBB3_831:                              ; =>This Inner Loop Header: Depth=1
	v_mov_b32_e32 v0, 1
	s_and_saveexec_b32 s5, s4
	s_cbranch_execz .LBB3_828
; %bb.832:                              ;   in Loop: Header=BB3_831 Depth=1
	global_load_dword v0, v[6:7], off offset:20 glc dlc
	s_waitcnt vmcnt(0)
	buffer_gl1_inv
	buffer_gl0_inv
	v_and_b32_e32 v0, 1, v0
	s_branch .LBB3_828
.LBB3_833:
	global_load_dwordx2 v[0:1], v[13:14], off
	s_and_saveexec_b32 s5, s4
	s_cbranch_execz .LBB3_837
; %bb.834:
	v_mov_b32_e32 v6, 0
	s_clause 0x2
	global_load_dwordx2 v[2:3], v6, s[38:39] offset:40
	global_load_dwordx2 v[13:14], v6, s[38:39] offset:24 glc dlc
	global_load_dwordx2 v[11:12], v6, s[38:39]
	s_waitcnt vmcnt(2)
	v_add_co_u32 v7, vcc_lo, v2, 1
	v_add_co_ci_u32_e32 v15, vcc_lo, 0, v3, vcc_lo
	v_add_co_u32 v9, vcc_lo, v7, s6
	v_add_co_ci_u32_e32 v10, vcc_lo, s7, v15, vcc_lo
	v_cmp_eq_u64_e32 vcc_lo, 0, v[9:10]
	v_cndmask_b32_e32 v10, v10, v15, vcc_lo
	v_cndmask_b32_e32 v9, v9, v7, vcc_lo
	v_and_b32_e32 v3, v10, v3
	v_and_b32_e32 v2, v9, v2
	v_mul_lo_u32 v3, v3, 24
	v_mul_hi_u32 v7, v2, 24
	v_mul_lo_u32 v2, v2, 24
	v_add_nc_u32_e32 v3, v7, v3
	s_waitcnt vmcnt(0)
	v_add_co_u32 v2, vcc_lo, v11, v2
	v_mov_b32_e32 v11, v13
	v_add_co_ci_u32_e32 v3, vcc_lo, v12, v3, vcc_lo
	v_mov_b32_e32 v12, v14
	global_store_dwordx2 v[2:3], v[13:14], off
	s_waitcnt_vscnt null, 0x0
	global_atomic_cmpswap_x2 v[11:12], v6, v[9:12], s[38:39] offset:24 glc
	s_waitcnt vmcnt(0)
	v_cmp_ne_u64_e32 vcc_lo, v[11:12], v[13:14]
	s_and_b32 exec_lo, exec_lo, vcc_lo
	s_cbranch_execz .LBB3_837
; %bb.835:
	s_mov_b32 s4, 0
.LBB3_836:                              ; =>This Inner Loop Header: Depth=1
	s_sleep 1
	global_store_dwordx2 v[2:3], v[11:12], off
	s_waitcnt_vscnt null, 0x0
	global_atomic_cmpswap_x2 v[13:14], v6, v[9:12], s[38:39] offset:24 glc
	s_waitcnt vmcnt(0)
	v_cmp_eq_u64_e32 vcc_lo, v[13:14], v[11:12]
	v_mov_b32_e32 v11, v13
	v_mov_b32_e32 v12, v14
	s_or_b32 s4, vcc_lo, s4
	s_andn2_b32 exec_lo, exec_lo, s4
	s_cbranch_execnz .LBB3_836
.LBB3_837:
	s_or_b32 exec_lo, exec_lo, s5
	s_getpc_b64 s[6:7]
	s_add_u32 s6, s6, .str.10@rel32@lo+4
	s_addc_u32 s7, s7, .str.10@rel32@hi+12
	s_cmp_lg_u64 s[6:7], 0
	s_cbranch_scc0 .LBB3_916
; %bb.838:
	s_waitcnt vmcnt(0)
	v_and_b32_e32 v38, 2, v0
	v_mov_b32_e32 v13, 0
	v_and_b32_e32 v9, -3, v0
	v_mov_b32_e32 v10, v1
	v_mov_b32_e32 v14, 2
	;; [unrolled: 1-line block ×3, first 2 shown]
	s_mov_b64 s[10:11], 4
	s_branch .LBB3_840
.LBB3_839:                              ;   in Loop: Header=BB3_840 Depth=1
	s_or_b32 exec_lo, exec_lo, s5
	s_sub_u32 s10, s10, s16
	s_subb_u32 s11, s11, s17
	s_add_u32 s6, s6, s16
	s_addc_u32 s7, s7, s17
	s_cmp_lg_u64 s[10:11], 0
	s_cbranch_scc0 .LBB3_915
.LBB3_840:                              ; =>This Loop Header: Depth=1
                                        ;     Child Loop BB3_849 Depth 2
                                        ;     Child Loop BB3_845 Depth 2
	;; [unrolled: 1-line block ×11, first 2 shown]
	v_cmp_lt_u64_e64 s4, s[10:11], 56
	v_cmp_gt_u64_e64 s5, s[10:11], 7
                                        ; implicit-def: $vgpr18_vgpr19
                                        ; implicit-def: $sgpr22
	s_and_b32 s4, s4, exec_lo
	s_cselect_b32 s17, s11, 0
	s_cselect_b32 s16, s10, 56
	s_and_b32 vcc_lo, exec_lo, s5
	s_mov_b32 s4, -1
	s_cbranch_vccz .LBB3_847
; %bb.841:                              ;   in Loop: Header=BB3_840 Depth=1
	s_andn2_b32 vcc_lo, exec_lo, s4
	s_mov_b64 s[4:5], s[6:7]
	s_cbranch_vccz .LBB3_851
.LBB3_842:                              ;   in Loop: Header=BB3_840 Depth=1
	s_cmp_gt_u32 s22, 7
	s_cbranch_scc1 .LBB3_852
.LBB3_843:                              ;   in Loop: Header=BB3_840 Depth=1
	v_mov_b32_e32 v20, 0
	v_mov_b32_e32 v21, 0
	s_cmp_eq_u32 s22, 0
	s_cbranch_scc1 .LBB3_846
; %bb.844:                              ;   in Loop: Header=BB3_840 Depth=1
	s_mov_b64 s[18:19], 0
	s_mov_b64 s[20:21], 0
.LBB3_845:                              ;   Parent Loop BB3_840 Depth=1
                                        ; =>  This Inner Loop Header: Depth=2
	s_add_u32 s24, s4, s20
	s_addc_u32 s25, s5, s21
	s_add_u32 s20, s20, 1
	global_load_ubyte v2, v13, s[24:25]
	s_addc_u32 s21, s21, 0
	s_waitcnt vmcnt(0)
	v_and_b32_e32 v12, 0xffff, v2
	v_lshlrev_b64 v[2:3], s18, v[12:13]
	s_add_u32 s18, s18, 8
	s_addc_u32 s19, s19, 0
	s_cmp_lg_u32 s22, s20
	v_or_b32_e32 v20, v2, v20
	v_or_b32_e32 v21, v3, v21
	s_cbranch_scc1 .LBB3_845
.LBB3_846:                              ;   in Loop: Header=BB3_840 Depth=1
	s_mov_b32 s23, 0
	s_cbranch_execz .LBB3_853
	s_branch .LBB3_854
.LBB3_847:                              ;   in Loop: Header=BB3_840 Depth=1
	v_mov_b32_e32 v18, 0
	v_mov_b32_e32 v19, 0
	s_cmp_eq_u64 s[10:11], 0
	s_mov_b64 s[4:5], 0
	s_cbranch_scc1 .LBB3_850
; %bb.848:                              ;   in Loop: Header=BB3_840 Depth=1
	v_mov_b32_e32 v18, 0
	v_mov_b32_e32 v19, 0
	s_lshl_b64 s[18:19], s[16:17], 3
	s_mov_b64 s[20:21], s[6:7]
.LBB3_849:                              ;   Parent Loop BB3_840 Depth=1
                                        ; =>  This Inner Loop Header: Depth=2
	global_load_ubyte v2, v13, s[20:21]
	s_waitcnt vmcnt(0)
	v_and_b32_e32 v12, 0xffff, v2
	v_lshlrev_b64 v[2:3], s4, v[12:13]
	s_add_u32 s4, s4, 8
	s_addc_u32 s5, s5, 0
	s_add_u32 s20, s20, 1
	s_addc_u32 s21, s21, 0
	s_cmp_lg_u32 s18, s4
	v_or_b32_e32 v18, v2, v18
	v_or_b32_e32 v19, v3, v19
	s_cbranch_scc1 .LBB3_849
.LBB3_850:                              ;   in Loop: Header=BB3_840 Depth=1
	s_mov_b32 s22, 0
	s_mov_b64 s[4:5], s[6:7]
	s_cbranch_execnz .LBB3_842
.LBB3_851:                              ;   in Loop: Header=BB3_840 Depth=1
	global_load_dwordx2 v[18:19], v13, s[6:7]
	s_add_i32 s22, s16, -8
	s_add_u32 s4, s6, 8
	s_addc_u32 s5, s7, 0
	s_cmp_gt_u32 s22, 7
	s_cbranch_scc0 .LBB3_843
.LBB3_852:                              ;   in Loop: Header=BB3_840 Depth=1
                                        ; implicit-def: $vgpr20_vgpr21
                                        ; implicit-def: $sgpr23
.LBB3_853:                              ;   in Loop: Header=BB3_840 Depth=1
	global_load_dwordx2 v[20:21], v13, s[4:5]
	s_add_i32 s23, s22, -8
	s_add_u32 s4, s4, 8
	s_addc_u32 s5, s5, 0
.LBB3_854:                              ;   in Loop: Header=BB3_840 Depth=1
	s_cmp_gt_u32 s23, 7
	s_cbranch_scc1 .LBB3_859
; %bb.855:                              ;   in Loop: Header=BB3_840 Depth=1
	v_mov_b32_e32 v22, 0
	v_mov_b32_e32 v23, 0
	s_cmp_eq_u32 s23, 0
	s_cbranch_scc1 .LBB3_858
; %bb.856:                              ;   in Loop: Header=BB3_840 Depth=1
	s_mov_b64 s[18:19], 0
	s_mov_b64 s[20:21], 0
.LBB3_857:                              ;   Parent Loop BB3_840 Depth=1
                                        ; =>  This Inner Loop Header: Depth=2
	s_add_u32 s24, s4, s20
	s_addc_u32 s25, s5, s21
	s_add_u32 s20, s20, 1
	global_load_ubyte v2, v13, s[24:25]
	s_addc_u32 s21, s21, 0
	s_waitcnt vmcnt(0)
	v_and_b32_e32 v12, 0xffff, v2
	v_lshlrev_b64 v[2:3], s18, v[12:13]
	s_add_u32 s18, s18, 8
	s_addc_u32 s19, s19, 0
	s_cmp_lg_u32 s23, s20
	v_or_b32_e32 v22, v2, v22
	v_or_b32_e32 v23, v3, v23
	s_cbranch_scc1 .LBB3_857
.LBB3_858:                              ;   in Loop: Header=BB3_840 Depth=1
	s_mov_b32 s22, 0
	s_cbranch_execz .LBB3_860
	s_branch .LBB3_861
.LBB3_859:                              ;   in Loop: Header=BB3_840 Depth=1
                                        ; implicit-def: $sgpr22
.LBB3_860:                              ;   in Loop: Header=BB3_840 Depth=1
	global_load_dwordx2 v[22:23], v13, s[4:5]
	s_add_i32 s22, s23, -8
	s_add_u32 s4, s4, 8
	s_addc_u32 s5, s5, 0
.LBB3_861:                              ;   in Loop: Header=BB3_840 Depth=1
	s_cmp_gt_u32 s22, 7
	s_cbranch_scc1 .LBB3_866
; %bb.862:                              ;   in Loop: Header=BB3_840 Depth=1
	v_mov_b32_e32 v24, 0
	v_mov_b32_e32 v25, 0
	s_cmp_eq_u32 s22, 0
	s_cbranch_scc1 .LBB3_865
; %bb.863:                              ;   in Loop: Header=BB3_840 Depth=1
	s_mov_b64 s[18:19], 0
	s_mov_b64 s[20:21], 0
.LBB3_864:                              ;   Parent Loop BB3_840 Depth=1
                                        ; =>  This Inner Loop Header: Depth=2
	s_add_u32 s24, s4, s20
	s_addc_u32 s25, s5, s21
	s_add_u32 s20, s20, 1
	global_load_ubyte v2, v13, s[24:25]
	s_addc_u32 s21, s21, 0
	s_waitcnt vmcnt(0)
	v_and_b32_e32 v12, 0xffff, v2
	v_lshlrev_b64 v[2:3], s18, v[12:13]
	s_add_u32 s18, s18, 8
	s_addc_u32 s19, s19, 0
	s_cmp_lg_u32 s22, s20
	v_or_b32_e32 v24, v2, v24
	v_or_b32_e32 v25, v3, v25
	s_cbranch_scc1 .LBB3_864
.LBB3_865:                              ;   in Loop: Header=BB3_840 Depth=1
	s_mov_b32 s23, 0
	s_cbranch_execz .LBB3_867
	s_branch .LBB3_868
.LBB3_866:                              ;   in Loop: Header=BB3_840 Depth=1
                                        ; implicit-def: $vgpr24_vgpr25
                                        ; implicit-def: $sgpr23
.LBB3_867:                              ;   in Loop: Header=BB3_840 Depth=1
	global_load_dwordx2 v[24:25], v13, s[4:5]
	s_add_i32 s23, s22, -8
	s_add_u32 s4, s4, 8
	s_addc_u32 s5, s5, 0
.LBB3_868:                              ;   in Loop: Header=BB3_840 Depth=1
	s_cmp_gt_u32 s23, 7
	s_cbranch_scc1 .LBB3_873
; %bb.869:                              ;   in Loop: Header=BB3_840 Depth=1
	v_mov_b32_e32 v26, 0
	v_mov_b32_e32 v27, 0
	s_cmp_eq_u32 s23, 0
	s_cbranch_scc1 .LBB3_872
; %bb.870:                              ;   in Loop: Header=BB3_840 Depth=1
	s_mov_b64 s[18:19], 0
	s_mov_b64 s[20:21], 0
.LBB3_871:                              ;   Parent Loop BB3_840 Depth=1
                                        ; =>  This Inner Loop Header: Depth=2
	s_add_u32 s24, s4, s20
	s_addc_u32 s25, s5, s21
	s_add_u32 s20, s20, 1
	global_load_ubyte v2, v13, s[24:25]
	s_addc_u32 s21, s21, 0
	s_waitcnt vmcnt(0)
	v_and_b32_e32 v12, 0xffff, v2
	v_lshlrev_b64 v[2:3], s18, v[12:13]
	s_add_u32 s18, s18, 8
	s_addc_u32 s19, s19, 0
	s_cmp_lg_u32 s23, s20
	v_or_b32_e32 v26, v2, v26
	v_or_b32_e32 v27, v3, v27
	s_cbranch_scc1 .LBB3_871
.LBB3_872:                              ;   in Loop: Header=BB3_840 Depth=1
	s_mov_b32 s22, 0
	s_cbranch_execz .LBB3_874
	s_branch .LBB3_875
.LBB3_873:                              ;   in Loop: Header=BB3_840 Depth=1
                                        ; implicit-def: $sgpr22
.LBB3_874:                              ;   in Loop: Header=BB3_840 Depth=1
	global_load_dwordx2 v[26:27], v13, s[4:5]
	s_add_i32 s22, s23, -8
	s_add_u32 s4, s4, 8
	s_addc_u32 s5, s5, 0
.LBB3_875:                              ;   in Loop: Header=BB3_840 Depth=1
	s_cmp_gt_u32 s22, 7
	s_cbranch_scc1 .LBB3_880
; %bb.876:                              ;   in Loop: Header=BB3_840 Depth=1
	v_mov_b32_e32 v28, 0
	v_mov_b32_e32 v29, 0
	s_cmp_eq_u32 s22, 0
	s_cbranch_scc1 .LBB3_879
; %bb.877:                              ;   in Loop: Header=BB3_840 Depth=1
	s_mov_b64 s[18:19], 0
	s_mov_b64 s[20:21], 0
.LBB3_878:                              ;   Parent Loop BB3_840 Depth=1
                                        ; =>  This Inner Loop Header: Depth=2
	s_add_u32 s24, s4, s20
	s_addc_u32 s25, s5, s21
	s_add_u32 s20, s20, 1
	global_load_ubyte v2, v13, s[24:25]
	s_addc_u32 s21, s21, 0
	s_waitcnt vmcnt(0)
	v_and_b32_e32 v12, 0xffff, v2
	v_lshlrev_b64 v[2:3], s18, v[12:13]
	s_add_u32 s18, s18, 8
	s_addc_u32 s19, s19, 0
	s_cmp_lg_u32 s22, s20
	v_or_b32_e32 v28, v2, v28
	v_or_b32_e32 v29, v3, v29
	s_cbranch_scc1 .LBB3_878
.LBB3_879:                              ;   in Loop: Header=BB3_840 Depth=1
	s_mov_b32 s23, 0
	s_cbranch_execz .LBB3_881
	s_branch .LBB3_882
.LBB3_880:                              ;   in Loop: Header=BB3_840 Depth=1
                                        ; implicit-def: $vgpr28_vgpr29
                                        ; implicit-def: $sgpr23
.LBB3_881:                              ;   in Loop: Header=BB3_840 Depth=1
	global_load_dwordx2 v[28:29], v13, s[4:5]
	s_add_i32 s23, s22, -8
	s_add_u32 s4, s4, 8
	s_addc_u32 s5, s5, 0
.LBB3_882:                              ;   in Loop: Header=BB3_840 Depth=1
	s_cmp_gt_u32 s23, 7
	s_cbranch_scc1 .LBB3_887
; %bb.883:                              ;   in Loop: Header=BB3_840 Depth=1
	v_mov_b32_e32 v30, 0
	v_mov_b32_e32 v31, 0
	s_cmp_eq_u32 s23, 0
	s_cbranch_scc1 .LBB3_886
; %bb.884:                              ;   in Loop: Header=BB3_840 Depth=1
	s_mov_b64 s[18:19], 0
	s_mov_b64 s[20:21], s[4:5]
.LBB3_885:                              ;   Parent Loop BB3_840 Depth=1
                                        ; =>  This Inner Loop Header: Depth=2
	global_load_ubyte v2, v13, s[20:21]
	s_add_i32 s23, s23, -1
	s_waitcnt vmcnt(0)
	v_and_b32_e32 v12, 0xffff, v2
	v_lshlrev_b64 v[2:3], s18, v[12:13]
	s_add_u32 s18, s18, 8
	s_addc_u32 s19, s19, 0
	s_add_u32 s20, s20, 1
	s_addc_u32 s21, s21, 0
	s_cmp_lg_u32 s23, 0
	v_or_b32_e32 v30, v2, v30
	v_or_b32_e32 v31, v3, v31
	s_cbranch_scc1 .LBB3_885
.LBB3_886:                              ;   in Loop: Header=BB3_840 Depth=1
	s_cbranch_execz .LBB3_888
	s_branch .LBB3_889
.LBB3_887:                              ;   in Loop: Header=BB3_840 Depth=1
.LBB3_888:                              ;   in Loop: Header=BB3_840 Depth=1
	global_load_dwordx2 v[30:31], v13, s[4:5]
.LBB3_889:                              ;   in Loop: Header=BB3_840 Depth=1
	v_readfirstlane_b32 s4, v51
	v_mov_b32_e32 v2, 0
	v_mov_b32_e32 v3, 0
	v_cmp_eq_u32_e64 s4, s4, v51
	s_and_saveexec_b32 s5, s4
	s_cbranch_execz .LBB3_895
; %bb.890:                              ;   in Loop: Header=BB3_840 Depth=1
	global_load_dwordx2 v[34:35], v13, s[38:39] offset:24 glc dlc
	s_waitcnt vmcnt(0)
	buffer_gl1_inv
	buffer_gl0_inv
	s_clause 0x1
	global_load_dwordx2 v[2:3], v13, s[38:39] offset:40
	global_load_dwordx2 v[6:7], v13, s[38:39]
	s_mov_b32 s18, exec_lo
	s_waitcnt vmcnt(1)
	v_and_b32_e32 v3, v3, v35
	v_and_b32_e32 v2, v2, v34
	v_mul_lo_u32 v3, v3, 24
	v_mul_hi_u32 v11, v2, 24
	v_mul_lo_u32 v2, v2, 24
	v_add_nc_u32_e32 v3, v11, v3
	s_waitcnt vmcnt(0)
	v_add_co_u32 v2, vcc_lo, v6, v2
	v_add_co_ci_u32_e32 v3, vcc_lo, v7, v3, vcc_lo
	global_load_dwordx2 v[32:33], v[2:3], off glc dlc
	s_waitcnt vmcnt(0)
	global_atomic_cmpswap_x2 v[2:3], v13, v[32:35], s[38:39] offset:24 glc
	s_waitcnt vmcnt(0)
	buffer_gl1_inv
	buffer_gl0_inv
	v_cmpx_ne_u64_e64 v[2:3], v[34:35]
	s_cbranch_execz .LBB3_894
; %bb.891:                              ;   in Loop: Header=BB3_840 Depth=1
	s_mov_b32 s19, 0
	.p2align	6
.LBB3_892:                              ;   Parent Loop BB3_840 Depth=1
                                        ; =>  This Inner Loop Header: Depth=2
	s_sleep 1
	s_clause 0x1
	global_load_dwordx2 v[6:7], v13, s[38:39] offset:40
	global_load_dwordx2 v[11:12], v13, s[38:39]
	v_mov_b32_e32 v35, v3
	v_mov_b32_e32 v34, v2
	s_waitcnt vmcnt(1)
	v_and_b32_e32 v2, v6, v34
	v_and_b32_e32 v6, v7, v35
	s_waitcnt vmcnt(0)
	v_mad_u64_u32 v[2:3], null, v2, 24, v[11:12]
	v_mad_u64_u32 v[6:7], null, v6, 24, v[3:4]
	v_mov_b32_e32 v3, v6
	global_load_dwordx2 v[32:33], v[2:3], off glc dlc
	s_waitcnt vmcnt(0)
	global_atomic_cmpswap_x2 v[2:3], v13, v[32:35], s[38:39] offset:24 glc
	s_waitcnt vmcnt(0)
	buffer_gl1_inv
	buffer_gl0_inv
	v_cmp_eq_u64_e32 vcc_lo, v[2:3], v[34:35]
	s_or_b32 s19, vcc_lo, s19
	s_andn2_b32 exec_lo, exec_lo, s19
	s_cbranch_execnz .LBB3_892
; %bb.893:                              ;   in Loop: Header=BB3_840 Depth=1
	s_or_b32 exec_lo, exec_lo, s19
.LBB3_894:                              ;   in Loop: Header=BB3_840 Depth=1
	s_or_b32 exec_lo, exec_lo, s18
.LBB3_895:                              ;   in Loop: Header=BB3_840 Depth=1
	s_or_b32 exec_lo, exec_lo, s5
	s_clause 0x1
	global_load_dwordx2 v[6:7], v13, s[38:39] offset:40
	global_load_dwordx4 v[32:35], v13, s[38:39]
	v_readfirstlane_b32 s18, v2
	v_readfirstlane_b32 s19, v3
	s_mov_b32 s5, exec_lo
	s_waitcnt vmcnt(1)
	v_readfirstlane_b32 s20, v6
	v_readfirstlane_b32 s21, v7
	s_and_b64 s[20:21], s[18:19], s[20:21]
	s_mul_i32 s22, s21, 24
	s_mul_hi_u32 s23, s20, 24
	s_mul_i32 s24, s20, 24
	s_add_i32 s23, s23, s22
	s_waitcnt vmcnt(0)
	v_add_co_u32 v2, vcc_lo, v32, s24
	v_add_co_ci_u32_e32 v3, vcc_lo, s23, v33, vcc_lo
	s_and_saveexec_b32 s22, s4
	s_cbranch_execz .LBB3_897
; %bb.896:                              ;   in Loop: Header=BB3_840 Depth=1
	v_mov_b32_e32 v12, s5
	global_store_dwordx4 v[2:3], v[12:15], off offset:8
.LBB3_897:                              ;   in Loop: Header=BB3_840 Depth=1
	s_or_b32 exec_lo, exec_lo, s22
	s_lshl_b64 s[20:21], s[20:21], 12
	v_cmp_gt_u64_e64 vcc_lo, s[10:11], 56
	v_or_b32_e32 v6, 0, v10
	v_or_b32_e32 v7, v9, v38
	v_add_co_u32 v34, s5, v34, s20
	v_add_co_ci_u32_e64 v35, s5, s21, v35, s5
	s_lshl_b32 s5, s16, 2
	v_cndmask_b32_e32 v17, v6, v10, vcc_lo
	v_cndmask_b32_e32 v6, v7, v9, vcc_lo
	s_add_i32 s5, s5, 28
	v_readfirstlane_b32 s20, v34
	s_and_b32 s5, s5, 0x1e0
	v_readfirstlane_b32 s21, v35
	v_and_or_b32 v16, 0xffffff1f, v6, s5
	global_store_dwordx4 v50, v[16:19], s[20:21]
	global_store_dwordx4 v50, v[20:23], s[20:21] offset:16
	global_store_dwordx4 v50, v[24:27], s[20:21] offset:32
	;; [unrolled: 1-line block ×3, first 2 shown]
	s_and_saveexec_b32 s5, s4
	s_cbranch_execz .LBB3_905
; %bb.898:                              ;   in Loop: Header=BB3_840 Depth=1
	s_clause 0x1
	global_load_dwordx2 v[18:19], v13, s[38:39] offset:32 glc dlc
	global_load_dwordx2 v[6:7], v13, s[38:39] offset:40
	v_mov_b32_e32 v16, s18
	v_mov_b32_e32 v17, s19
	s_waitcnt vmcnt(0)
	v_readfirstlane_b32 s20, v6
	v_readfirstlane_b32 s21, v7
	s_and_b64 s[20:21], s[20:21], s[18:19]
	s_mul_i32 s21, s21, 24
	s_mul_hi_u32 s22, s20, 24
	s_mul_i32 s20, s20, 24
	s_add_i32 s22, s22, s21
	v_add_co_u32 v6, vcc_lo, v32, s20
	v_add_co_ci_u32_e32 v7, vcc_lo, s22, v33, vcc_lo
	s_mov_b32 s20, exec_lo
	global_store_dwordx2 v[6:7], v[18:19], off
	s_waitcnt_vscnt null, 0x0
	global_atomic_cmpswap_x2 v[11:12], v13, v[16:19], s[38:39] offset:32 glc
	s_waitcnt vmcnt(0)
	v_cmpx_ne_u64_e64 v[11:12], v[18:19]
	s_cbranch_execz .LBB3_901
; %bb.899:                              ;   in Loop: Header=BB3_840 Depth=1
	s_mov_b32 s21, 0
.LBB3_900:                              ;   Parent Loop BB3_840 Depth=1
                                        ; =>  This Inner Loop Header: Depth=2
	v_mov_b32_e32 v9, s18
	v_mov_b32_e32 v10, s19
	s_sleep 1
	global_store_dwordx2 v[6:7], v[11:12], off
	s_waitcnt_vscnt null, 0x0
	global_atomic_cmpswap_x2 v[9:10], v13, v[9:12], s[38:39] offset:32 glc
	s_waitcnt vmcnt(0)
	v_cmp_eq_u64_e32 vcc_lo, v[9:10], v[11:12]
	v_mov_b32_e32 v12, v10
	v_mov_b32_e32 v11, v9
	s_or_b32 s21, vcc_lo, s21
	s_andn2_b32 exec_lo, exec_lo, s21
	s_cbranch_execnz .LBB3_900
.LBB3_901:                              ;   in Loop: Header=BB3_840 Depth=1
	s_or_b32 exec_lo, exec_lo, s20
	global_load_dwordx2 v[6:7], v13, s[38:39] offset:16
	s_mov_b32 s21, exec_lo
	s_mov_b32 s20, exec_lo
	v_mbcnt_lo_u32_b32 v9, s21, 0
	v_cmpx_eq_u32_e32 0, v9
	s_cbranch_execz .LBB3_903
; %bb.902:                              ;   in Loop: Header=BB3_840 Depth=1
	s_bcnt1_i32_b32 s21, s21
	v_mov_b32_e32 v12, s21
	s_waitcnt vmcnt(0)
	global_atomic_add_x2 v[6:7], v[12:13], off offset:8
.LBB3_903:                              ;   in Loop: Header=BB3_840 Depth=1
	s_or_b32 exec_lo, exec_lo, s20
	s_waitcnt vmcnt(0)
	global_load_dwordx2 v[9:10], v[6:7], off offset:16
	s_waitcnt vmcnt(0)
	v_cmp_eq_u64_e32 vcc_lo, 0, v[9:10]
	s_cbranch_vccnz .LBB3_905
; %bb.904:                              ;   in Loop: Header=BB3_840 Depth=1
	global_load_dword v12, v[6:7], off offset:24
	s_waitcnt vmcnt(0)
	v_and_b32_e32 v6, 0x7fffff, v12
	s_waitcnt_vscnt null, 0x0
	global_store_dwordx2 v[9:10], v[12:13], off
	v_readfirstlane_b32 m0, v6
	s_sendmsg sendmsg(MSG_INTERRUPT)
.LBB3_905:                              ;   in Loop: Header=BB3_840 Depth=1
	s_or_b32 exec_lo, exec_lo, s5
	v_add_co_u32 v6, vcc_lo, v34, v50
	v_add_co_ci_u32_e32 v7, vcc_lo, 0, v35, vcc_lo
	s_branch .LBB3_909
	.p2align	6
.LBB3_906:                              ;   in Loop: Header=BB3_909 Depth=2
	s_or_b32 exec_lo, exec_lo, s5
	v_readfirstlane_b32 s5, v9
	s_cmp_eq_u32 s5, 0
	s_cbranch_scc1 .LBB3_908
; %bb.907:                              ;   in Loop: Header=BB3_909 Depth=2
	s_sleep 1
	s_cbranch_execnz .LBB3_909
	s_branch .LBB3_911
	.p2align	6
.LBB3_908:                              ;   in Loop: Header=BB3_840 Depth=1
	s_branch .LBB3_911
.LBB3_909:                              ;   Parent Loop BB3_840 Depth=1
                                        ; =>  This Inner Loop Header: Depth=2
	v_mov_b32_e32 v9, 1
	s_and_saveexec_b32 s5, s4
	s_cbranch_execz .LBB3_906
; %bb.910:                              ;   in Loop: Header=BB3_909 Depth=2
	global_load_dword v9, v[2:3], off offset:20 glc dlc
	s_waitcnt vmcnt(0)
	buffer_gl1_inv
	buffer_gl0_inv
	v_and_b32_e32 v9, 1, v9
	s_branch .LBB3_906
.LBB3_911:                              ;   in Loop: Header=BB3_840 Depth=1
	global_load_dwordx4 v[9:12], v[6:7], off
	s_and_saveexec_b32 s5, s4
	s_cbranch_execz .LBB3_839
; %bb.912:                              ;   in Loop: Header=BB3_840 Depth=1
	s_clause 0x2
	global_load_dwordx2 v[2:3], v13, s[38:39] offset:40
	global_load_dwordx2 v[6:7], v13, s[38:39] offset:24 glc dlc
	global_load_dwordx2 v[11:12], v13, s[38:39]
	s_waitcnt vmcnt(2)
	v_add_co_u32 v18, vcc_lo, v2, 1
	v_add_co_ci_u32_e32 v19, vcc_lo, 0, v3, vcc_lo
	v_add_co_u32 v16, vcc_lo, v18, s18
	v_add_co_ci_u32_e32 v17, vcc_lo, s19, v19, vcc_lo
	v_cmp_eq_u64_e32 vcc_lo, 0, v[16:17]
	v_cndmask_b32_e32 v17, v17, v19, vcc_lo
	v_cndmask_b32_e32 v16, v16, v18, vcc_lo
	s_waitcnt vmcnt(1)
	v_mov_b32_e32 v19, v7
	v_and_b32_e32 v3, v17, v3
	v_and_b32_e32 v2, v16, v2
	v_mul_lo_u32 v3, v3, 24
	v_mul_hi_u32 v18, v2, 24
	v_mul_lo_u32 v2, v2, 24
	v_add_nc_u32_e32 v3, v18, v3
	s_waitcnt vmcnt(0)
	v_add_co_u32 v2, vcc_lo, v11, v2
	v_mov_b32_e32 v18, v6
	v_add_co_ci_u32_e32 v3, vcc_lo, v12, v3, vcc_lo
	global_store_dwordx2 v[2:3], v[6:7], off
	s_waitcnt_vscnt null, 0x0
	global_atomic_cmpswap_x2 v[18:19], v13, v[16:19], s[38:39] offset:24 glc
	s_waitcnt vmcnt(0)
	v_cmp_ne_u64_e32 vcc_lo, v[18:19], v[6:7]
	s_and_b32 exec_lo, exec_lo, vcc_lo
	s_cbranch_execz .LBB3_839
; %bb.913:                              ;   in Loop: Header=BB3_840 Depth=1
	s_mov_b32 s4, 0
.LBB3_914:                              ;   Parent Loop BB3_840 Depth=1
                                        ; =>  This Inner Loop Header: Depth=2
	s_sleep 1
	global_store_dwordx2 v[2:3], v[18:19], off
	s_waitcnt_vscnt null, 0x0
	global_atomic_cmpswap_x2 v[6:7], v13, v[16:19], s[38:39] offset:24 glc
	s_waitcnt vmcnt(0)
	v_cmp_eq_u64_e32 vcc_lo, v[6:7], v[18:19]
	v_mov_b32_e32 v19, v7
	v_mov_b32_e32 v18, v6
	s_or_b32 s4, vcc_lo, s4
	s_andn2_b32 exec_lo, exec_lo, s4
	s_cbranch_execnz .LBB3_914
	s_branch .LBB3_839
.LBB3_915:
	s_branch .LBB3_944
.LBB3_916:
                                        ; implicit-def: $vgpr9_vgpr10
	s_cbranch_execz .LBB3_944
; %bb.917:
	v_readfirstlane_b32 s4, v51
	v_mov_b32_e32 v6, 0
	v_mov_b32_e32 v7, 0
	v_cmp_eq_u32_e64 s4, s4, v51
	s_and_saveexec_b32 s5, s4
	s_cbranch_execz .LBB3_923
; %bb.918:
	v_mov_b32_e32 v2, 0
	s_mov_b32 s6, exec_lo
	global_load_dwordx2 v[11:12], v2, s[38:39] offset:24 glc dlc
	s_waitcnt vmcnt(0)
	buffer_gl1_inv
	buffer_gl0_inv
	s_clause 0x1
	global_load_dwordx2 v[6:7], v2, s[38:39] offset:40
	global_load_dwordx2 v[9:10], v2, s[38:39]
	s_waitcnt vmcnt(1)
	v_and_b32_e32 v3, v7, v12
	v_and_b32_e32 v6, v6, v11
	v_mul_lo_u32 v3, v3, 24
	v_mul_hi_u32 v7, v6, 24
	v_mul_lo_u32 v6, v6, 24
	v_add_nc_u32_e32 v3, v7, v3
	s_waitcnt vmcnt(0)
	v_add_co_u32 v6, vcc_lo, v9, v6
	v_add_co_ci_u32_e32 v7, vcc_lo, v10, v3, vcc_lo
	global_load_dwordx2 v[9:10], v[6:7], off glc dlc
	s_waitcnt vmcnt(0)
	global_atomic_cmpswap_x2 v[6:7], v2, v[9:12], s[38:39] offset:24 glc
	s_waitcnt vmcnt(0)
	buffer_gl1_inv
	buffer_gl0_inv
	v_cmpx_ne_u64_e64 v[6:7], v[11:12]
	s_cbranch_execz .LBB3_922
; %bb.919:
	s_mov_b32 s7, 0
	.p2align	6
.LBB3_920:                              ; =>This Inner Loop Header: Depth=1
	s_sleep 1
	s_clause 0x1
	global_load_dwordx2 v[9:10], v2, s[38:39] offset:40
	global_load_dwordx2 v[13:14], v2, s[38:39]
	v_mov_b32_e32 v12, v7
	v_mov_b32_e32 v11, v6
	s_waitcnt vmcnt(1)
	v_and_b32_e32 v3, v9, v11
	v_and_b32_e32 v9, v10, v12
	s_waitcnt vmcnt(0)
	v_mad_u64_u32 v[6:7], null, v3, 24, v[13:14]
	v_mov_b32_e32 v3, v7
	v_mad_u64_u32 v[9:10], null, v9, 24, v[3:4]
	v_mov_b32_e32 v7, v9
	global_load_dwordx2 v[9:10], v[6:7], off glc dlc
	s_waitcnt vmcnt(0)
	global_atomic_cmpswap_x2 v[6:7], v2, v[9:12], s[38:39] offset:24 glc
	s_waitcnt vmcnt(0)
	buffer_gl1_inv
	buffer_gl0_inv
	v_cmp_eq_u64_e32 vcc_lo, v[6:7], v[11:12]
	s_or_b32 s7, vcc_lo, s7
	s_andn2_b32 exec_lo, exec_lo, s7
	s_cbranch_execnz .LBB3_920
; %bb.921:
	s_or_b32 exec_lo, exec_lo, s7
.LBB3_922:
	s_or_b32 exec_lo, exec_lo, s6
.LBB3_923:
	s_or_b32 exec_lo, exec_lo, s5
	v_mov_b32_e32 v2, 0
	v_readfirstlane_b32 s6, v6
	v_readfirstlane_b32 s7, v7
	s_mov_b32 s5, exec_lo
	s_clause 0x1
	global_load_dwordx2 v[13:14], v2, s[38:39] offset:40
	global_load_dwordx4 v[9:12], v2, s[38:39]
	s_waitcnt vmcnt(1)
	v_readfirstlane_b32 s10, v13
	v_readfirstlane_b32 s11, v14
	s_and_b64 s[10:11], s[6:7], s[10:11]
	s_mul_i32 s16, s11, 24
	s_mul_hi_u32 s17, s10, 24
	s_mul_i32 s18, s10, 24
	s_add_i32 s17, s17, s16
	s_waitcnt vmcnt(0)
	v_add_co_u32 v6, vcc_lo, v9, s18
	v_add_co_ci_u32_e32 v7, vcc_lo, s17, v10, vcc_lo
	s_and_saveexec_b32 s16, s4
	s_cbranch_execz .LBB3_925
; %bb.924:
	v_mov_b32_e32 v13, s5
	v_mov_b32_e32 v14, v2
	;; [unrolled: 1-line block ×4, first 2 shown]
	global_store_dwordx4 v[6:7], v[13:16], off offset:8
.LBB3_925:
	s_or_b32 exec_lo, exec_lo, s16
	s_lshl_b64 s[10:11], s[10:11], 12
	s_mov_b32 s16, 0
	v_add_co_u32 v11, vcc_lo, v11, s10
	v_add_co_ci_u32_e32 v12, vcc_lo, s11, v12, vcc_lo
	s_mov_b32 s17, s16
	v_readfirstlane_b32 s10, v11
	v_add_co_u32 v11, vcc_lo, v11, v50
	s_mov_b32 s18, s16
	s_mov_b32 s19, s16
	v_and_or_b32 v0, 0xffffff1f, v0, 32
	v_mov_b32_e32 v3, v2
	v_readfirstlane_b32 s11, v12
	v_mov_b32_e32 v13, s16
	v_add_co_ci_u32_e32 v12, vcc_lo, 0, v12, vcc_lo
	v_mov_b32_e32 v14, s17
	v_mov_b32_e32 v15, s18
	;; [unrolled: 1-line block ×3, first 2 shown]
	global_store_dwordx4 v50, v[0:3], s[10:11]
	global_store_dwordx4 v50, v[13:16], s[10:11] offset:16
	global_store_dwordx4 v50, v[13:16], s[10:11] offset:32
	;; [unrolled: 1-line block ×3, first 2 shown]
	s_and_saveexec_b32 s5, s4
	s_cbranch_execz .LBB3_933
; %bb.926:
	v_mov_b32_e32 v13, 0
	v_mov_b32_e32 v14, s6
	;; [unrolled: 1-line block ×3, first 2 shown]
	s_clause 0x1
	global_load_dwordx2 v[16:17], v13, s[38:39] offset:32 glc dlc
	global_load_dwordx2 v[0:1], v13, s[38:39] offset:40
	s_waitcnt vmcnt(0)
	v_readfirstlane_b32 s10, v0
	v_readfirstlane_b32 s11, v1
	s_and_b64 s[10:11], s[10:11], s[6:7]
	s_mul_i32 s11, s11, 24
	s_mul_hi_u32 s16, s10, 24
	s_mul_i32 s10, s10, 24
	s_add_i32 s16, s16, s11
	v_add_co_u32 v9, vcc_lo, v9, s10
	v_add_co_ci_u32_e32 v10, vcc_lo, s16, v10, vcc_lo
	s_mov_b32 s10, exec_lo
	global_store_dwordx2 v[9:10], v[16:17], off
	s_waitcnt_vscnt null, 0x0
	global_atomic_cmpswap_x2 v[2:3], v13, v[14:17], s[38:39] offset:32 glc
	s_waitcnt vmcnt(0)
	v_cmpx_ne_u64_e64 v[2:3], v[16:17]
	s_cbranch_execz .LBB3_929
; %bb.927:
	s_mov_b32 s11, 0
.LBB3_928:                              ; =>This Inner Loop Header: Depth=1
	v_mov_b32_e32 v0, s6
	v_mov_b32_e32 v1, s7
	s_sleep 1
	global_store_dwordx2 v[9:10], v[2:3], off
	s_waitcnt_vscnt null, 0x0
	global_atomic_cmpswap_x2 v[0:1], v13, v[0:3], s[38:39] offset:32 glc
	s_waitcnt vmcnt(0)
	v_cmp_eq_u64_e32 vcc_lo, v[0:1], v[2:3]
	v_mov_b32_e32 v3, v1
	v_mov_b32_e32 v2, v0
	s_or_b32 s11, vcc_lo, s11
	s_andn2_b32 exec_lo, exec_lo, s11
	s_cbranch_execnz .LBB3_928
.LBB3_929:
	s_or_b32 exec_lo, exec_lo, s10
	v_mov_b32_e32 v3, 0
	s_mov_b32 s11, exec_lo
	s_mov_b32 s10, exec_lo
	v_mbcnt_lo_u32_b32 v2, s11, 0
	global_load_dwordx2 v[0:1], v3, s[38:39] offset:16
	v_cmpx_eq_u32_e32 0, v2
	s_cbranch_execz .LBB3_931
; %bb.930:
	s_bcnt1_i32_b32 s11, s11
	v_mov_b32_e32 v2, s11
	s_waitcnt vmcnt(0)
	global_atomic_add_x2 v[0:1], v[2:3], off offset:8
.LBB3_931:
	s_or_b32 exec_lo, exec_lo, s10
	s_waitcnt vmcnt(0)
	global_load_dwordx2 v[2:3], v[0:1], off offset:16
	s_waitcnt vmcnt(0)
	v_cmp_eq_u64_e32 vcc_lo, 0, v[2:3]
	s_cbranch_vccnz .LBB3_933
; %bb.932:
	global_load_dword v0, v[0:1], off offset:24
	v_mov_b32_e32 v1, 0
	s_waitcnt vmcnt(0)
	v_and_b32_e32 v9, 0x7fffff, v0
	s_waitcnt_vscnt null, 0x0
	global_store_dwordx2 v[2:3], v[0:1], off
	v_readfirstlane_b32 m0, v9
	s_sendmsg sendmsg(MSG_INTERRUPT)
.LBB3_933:
	s_or_b32 exec_lo, exec_lo, s5
	s_branch .LBB3_937
	.p2align	6
.LBB3_934:                              ;   in Loop: Header=BB3_937 Depth=1
	s_or_b32 exec_lo, exec_lo, s5
	v_readfirstlane_b32 s5, v0
	s_cmp_eq_u32 s5, 0
	s_cbranch_scc1 .LBB3_936
; %bb.935:                              ;   in Loop: Header=BB3_937 Depth=1
	s_sleep 1
	s_cbranch_execnz .LBB3_937
	s_branch .LBB3_939
	.p2align	6
.LBB3_936:
	s_branch .LBB3_939
.LBB3_937:                              ; =>This Inner Loop Header: Depth=1
	v_mov_b32_e32 v0, 1
	s_and_saveexec_b32 s5, s4
	s_cbranch_execz .LBB3_934
; %bb.938:                              ;   in Loop: Header=BB3_937 Depth=1
	global_load_dword v0, v[6:7], off offset:20 glc dlc
	s_waitcnt vmcnt(0)
	buffer_gl1_inv
	buffer_gl0_inv
	v_and_b32_e32 v0, 1, v0
	s_branch .LBB3_934
.LBB3_939:
	global_load_dwordx2 v[9:10], v[11:12], off
	s_and_saveexec_b32 s5, s4
	s_cbranch_execz .LBB3_943
; %bb.940:
	v_mov_b32_e32 v11, 0
	s_clause 0x2
	global_load_dwordx2 v[2:3], v11, s[38:39] offset:40
	global_load_dwordx2 v[12:13], v11, s[38:39] offset:24 glc dlc
	global_load_dwordx2 v[6:7], v11, s[38:39]
	s_waitcnt vmcnt(2)
	v_add_co_u32 v14, vcc_lo, v2, 1
	v_add_co_ci_u32_e32 v15, vcc_lo, 0, v3, vcc_lo
	v_add_co_u32 v0, vcc_lo, v14, s6
	v_add_co_ci_u32_e32 v1, vcc_lo, s7, v15, vcc_lo
	v_cmp_eq_u64_e32 vcc_lo, 0, v[0:1]
	v_cndmask_b32_e32 v1, v1, v15, vcc_lo
	v_cndmask_b32_e32 v0, v0, v14, vcc_lo
	v_and_b32_e32 v3, v1, v3
	v_and_b32_e32 v2, v0, v2
	v_mul_lo_u32 v3, v3, 24
	v_mul_hi_u32 v14, v2, 24
	v_mul_lo_u32 v2, v2, 24
	v_add_nc_u32_e32 v3, v14, v3
	s_waitcnt vmcnt(0)
	v_add_co_u32 v6, vcc_lo, v6, v2
	v_mov_b32_e32 v2, v12
	v_add_co_ci_u32_e32 v7, vcc_lo, v7, v3, vcc_lo
	v_mov_b32_e32 v3, v13
	global_store_dwordx2 v[6:7], v[12:13], off
	s_waitcnt_vscnt null, 0x0
	global_atomic_cmpswap_x2 v[2:3], v11, v[0:3], s[38:39] offset:24 glc
	s_waitcnt vmcnt(0)
	v_cmp_ne_u64_e32 vcc_lo, v[2:3], v[12:13]
	s_and_b32 exec_lo, exec_lo, vcc_lo
	s_cbranch_execz .LBB3_943
; %bb.941:
	s_mov_b32 s4, 0
.LBB3_942:                              ; =>This Inner Loop Header: Depth=1
	s_sleep 1
	global_store_dwordx2 v[6:7], v[2:3], off
	s_waitcnt_vscnt null, 0x0
	global_atomic_cmpswap_x2 v[12:13], v11, v[0:3], s[38:39] offset:24 glc
	s_waitcnt vmcnt(0)
	v_cmp_eq_u64_e32 vcc_lo, v[12:13], v[2:3]
	v_mov_b32_e32 v2, v12
	v_mov_b32_e32 v3, v13
	s_or_b32 s4, vcc_lo, s4
	s_andn2_b32 exec_lo, exec_lo, s4
	s_cbranch_execnz .LBB3_942
.LBB3_943:
	s_or_b32 exec_lo, exec_lo, s5
.LBB3_944:
	v_readfirstlane_b32 s4, v51
	v_mov_b32_e32 v6, 0
	v_mov_b32_e32 v7, 0
	v_cmp_eq_u32_e64 s4, s4, v51
	s_and_saveexec_b32 s5, s4
	s_cbranch_execz .LBB3_950
; %bb.945:
	s_waitcnt vmcnt(0)
	v_mov_b32_e32 v0, 0
	s_mov_b32 s6, exec_lo
	global_load_dwordx2 v[13:14], v0, s[38:39] offset:24 glc dlc
	s_waitcnt vmcnt(0)
	buffer_gl1_inv
	buffer_gl0_inv
	s_clause 0x1
	global_load_dwordx2 v[1:2], v0, s[38:39] offset:40
	global_load_dwordx2 v[6:7], v0, s[38:39]
	s_waitcnt vmcnt(1)
	v_and_b32_e32 v2, v2, v14
	v_and_b32_e32 v1, v1, v13
	v_mul_lo_u32 v2, v2, 24
	v_mul_hi_u32 v3, v1, 24
	v_mul_lo_u32 v1, v1, 24
	v_add_nc_u32_e32 v2, v3, v2
	s_waitcnt vmcnt(0)
	v_add_co_u32 v1, vcc_lo, v6, v1
	v_add_co_ci_u32_e32 v2, vcc_lo, v7, v2, vcc_lo
	global_load_dwordx2 v[11:12], v[1:2], off glc dlc
	s_waitcnt vmcnt(0)
	global_atomic_cmpswap_x2 v[6:7], v0, v[11:14], s[38:39] offset:24 glc
	s_waitcnt vmcnt(0)
	buffer_gl1_inv
	buffer_gl0_inv
	v_cmpx_ne_u64_e64 v[6:7], v[13:14]
	s_cbranch_execz .LBB3_949
; %bb.946:
	s_mov_b32 s7, 0
	.p2align	6
.LBB3_947:                              ; =>This Inner Loop Header: Depth=1
	s_sleep 1
	s_clause 0x1
	global_load_dwordx2 v[1:2], v0, s[38:39] offset:40
	global_load_dwordx2 v[11:12], v0, s[38:39]
	v_mov_b32_e32 v14, v7
	v_mov_b32_e32 v13, v6
	s_waitcnt vmcnt(1)
	v_and_b32_e32 v1, v1, v13
	v_and_b32_e32 v2, v2, v14
	s_waitcnt vmcnt(0)
	v_mad_u64_u32 v[6:7], null, v1, 24, v[11:12]
	v_mov_b32_e32 v1, v7
	v_mad_u64_u32 v[1:2], null, v2, 24, v[1:2]
	v_mov_b32_e32 v7, v1
	global_load_dwordx2 v[11:12], v[6:7], off glc dlc
	s_waitcnt vmcnt(0)
	global_atomic_cmpswap_x2 v[6:7], v0, v[11:14], s[38:39] offset:24 glc
	s_waitcnt vmcnt(0)
	buffer_gl1_inv
	buffer_gl0_inv
	v_cmp_eq_u64_e32 vcc_lo, v[6:7], v[13:14]
	s_or_b32 s7, vcc_lo, s7
	s_andn2_b32 exec_lo, exec_lo, s7
	s_cbranch_execnz .LBB3_947
; %bb.948:
	s_or_b32 exec_lo, exec_lo, s7
.LBB3_949:
	s_or_b32 exec_lo, exec_lo, s6
.LBB3_950:
	s_or_b32 exec_lo, exec_lo, s5
	s_waitcnt vmcnt(0)
	v_mov_b32_e32 v12, 0
	v_readfirstlane_b32 s6, v6
	v_readfirstlane_b32 s7, v7
	s_mov_b32 s5, exec_lo
	s_clause 0x1
	global_load_dwordx2 v[13:14], v12, s[38:39] offset:40
	global_load_dwordx4 v[0:3], v12, s[38:39]
	s_waitcnt vmcnt(1)
	v_readfirstlane_b32 s10, v13
	v_readfirstlane_b32 s11, v14
	s_and_b64 s[10:11], s[6:7], s[10:11]
	s_mul_i32 s16, s11, 24
	s_mul_hi_u32 s17, s10, 24
	s_mul_i32 s18, s10, 24
	s_add_i32 s17, s17, s16
	s_waitcnt vmcnt(0)
	v_add_co_u32 v6, vcc_lo, v0, s18
	v_add_co_ci_u32_e32 v7, vcc_lo, s17, v1, vcc_lo
	s_and_saveexec_b32 s16, s4
	s_cbranch_execz .LBB3_952
; %bb.951:
	v_mov_b32_e32 v11, s5
	v_mov_b32_e32 v13, 2
	;; [unrolled: 1-line block ×3, first 2 shown]
	global_store_dwordx4 v[6:7], v[11:14], off offset:8
.LBB3_952:
	s_or_b32 exec_lo, exec_lo, s16
	s_lshl_b64 s[10:11], s[10:11], 12
	s_mov_b32 s16, 0
	v_add_co_u32 v2, vcc_lo, v2, s10
	v_add_co_ci_u32_e32 v3, vcc_lo, s11, v3, vcc_lo
	s_mov_b32 s17, s16
	s_mov_b32 s18, s16
	;; [unrolled: 1-line block ×3, first 2 shown]
	v_and_or_b32 v9, 0xffffff1d, v9, 34
	v_ashrrev_i32_e32 v12, 31, v8
	v_mov_b32_e32 v11, v8
	v_readfirstlane_b32 s10, v2
	v_readfirstlane_b32 s11, v3
	v_mov_b32_e32 v13, s16
	v_mov_b32_e32 v14, s17
	v_mov_b32_e32 v15, s18
	v_mov_b32_e32 v16, s19
	global_store_dwordx4 v50, v[9:12], s[10:11]
	global_store_dwordx4 v50, v[13:16], s[10:11] offset:16
	global_store_dwordx4 v50, v[13:16], s[10:11] offset:32
	;; [unrolled: 1-line block ×3, first 2 shown]
	s_and_saveexec_b32 s5, s4
	s_cbranch_execz .LBB3_960
; %bb.953:
	v_mov_b32_e32 v10, 0
	v_mov_b32_e32 v11, s6
	;; [unrolled: 1-line block ×3, first 2 shown]
	s_clause 0x1
	global_load_dwordx2 v[13:14], v10, s[38:39] offset:32 glc dlc
	global_load_dwordx2 v[2:3], v10, s[38:39] offset:40
	s_waitcnt vmcnt(0)
	v_readfirstlane_b32 s10, v2
	v_readfirstlane_b32 s11, v3
	s_and_b64 s[10:11], s[10:11], s[6:7]
	s_mul_i32 s11, s11, 24
	s_mul_hi_u32 s16, s10, 24
	s_mul_i32 s10, s10, 24
	s_add_i32 s16, s16, s11
	v_add_co_u32 v8, vcc_lo, v0, s10
	v_add_co_ci_u32_e32 v9, vcc_lo, s16, v1, vcc_lo
	s_mov_b32 s10, exec_lo
	global_store_dwordx2 v[8:9], v[13:14], off
	s_waitcnt_vscnt null, 0x0
	global_atomic_cmpswap_x2 v[2:3], v10, v[11:14], s[38:39] offset:32 glc
	s_waitcnt vmcnt(0)
	v_cmpx_ne_u64_e64 v[2:3], v[13:14]
	s_cbranch_execz .LBB3_956
; %bb.954:
	s_mov_b32 s11, 0
.LBB3_955:                              ; =>This Inner Loop Header: Depth=1
	v_mov_b32_e32 v0, s6
	v_mov_b32_e32 v1, s7
	s_sleep 1
	global_store_dwordx2 v[8:9], v[2:3], off
	s_waitcnt_vscnt null, 0x0
	global_atomic_cmpswap_x2 v[0:1], v10, v[0:3], s[38:39] offset:32 glc
	s_waitcnt vmcnt(0)
	v_cmp_eq_u64_e32 vcc_lo, v[0:1], v[2:3]
	v_mov_b32_e32 v3, v1
	v_mov_b32_e32 v2, v0
	s_or_b32 s11, vcc_lo, s11
	s_andn2_b32 exec_lo, exec_lo, s11
	s_cbranch_execnz .LBB3_955
.LBB3_956:
	s_or_b32 exec_lo, exec_lo, s10
	v_mov_b32_e32 v3, 0
	s_mov_b32 s11, exec_lo
	s_mov_b32 s10, exec_lo
	v_mbcnt_lo_u32_b32 v2, s11, 0
	global_load_dwordx2 v[0:1], v3, s[38:39] offset:16
	v_cmpx_eq_u32_e32 0, v2
	s_cbranch_execz .LBB3_958
; %bb.957:
	s_bcnt1_i32_b32 s11, s11
	v_mov_b32_e32 v2, s11
	s_waitcnt vmcnt(0)
	global_atomic_add_x2 v[0:1], v[2:3], off offset:8
.LBB3_958:
	s_or_b32 exec_lo, exec_lo, s10
	s_waitcnt vmcnt(0)
	global_load_dwordx2 v[2:3], v[0:1], off offset:16
	s_waitcnt vmcnt(0)
	v_cmp_eq_u64_e32 vcc_lo, 0, v[2:3]
	s_cbranch_vccnz .LBB3_960
; %bb.959:
	global_load_dword v0, v[0:1], off offset:24
	v_mov_b32_e32 v1, 0
	s_waitcnt vmcnt(0)
	v_and_b32_e32 v8, 0x7fffff, v0
	s_waitcnt_vscnt null, 0x0
	global_store_dwordx2 v[2:3], v[0:1], off
	v_readfirstlane_b32 m0, v8
	s_sendmsg sendmsg(MSG_INTERRUPT)
.LBB3_960:
	s_or_b32 exec_lo, exec_lo, s5
	s_branch .LBB3_964
	.p2align	6
.LBB3_961:                              ;   in Loop: Header=BB3_964 Depth=1
	s_or_b32 exec_lo, exec_lo, s5
	v_readfirstlane_b32 s5, v0
	s_cmp_eq_u32 s5, 0
	s_cbranch_scc1 .LBB3_963
; %bb.962:                              ;   in Loop: Header=BB3_964 Depth=1
	s_sleep 1
	s_cbranch_execnz .LBB3_964
	s_branch .LBB3_966
	.p2align	6
.LBB3_963:
	s_branch .LBB3_966
.LBB3_964:                              ; =>This Inner Loop Header: Depth=1
	v_mov_b32_e32 v0, 1
	s_and_saveexec_b32 s5, s4
	s_cbranch_execz .LBB3_961
; %bb.965:                              ;   in Loop: Header=BB3_964 Depth=1
	global_load_dword v0, v[6:7], off offset:20 glc dlc
	s_waitcnt vmcnt(0)
	buffer_gl1_inv
	buffer_gl0_inv
	v_and_b32_e32 v0, 1, v0
	s_branch .LBB3_961
.LBB3_966:
	s_and_saveexec_b32 s5, s4
	s_cbranch_execz .LBB3_970
; %bb.967:
	v_mov_b32_e32 v8, 0
	s_clause 0x2
	global_load_dwordx2 v[2:3], v8, s[38:39] offset:40
	global_load_dwordx2 v[9:10], v8, s[38:39] offset:24 glc dlc
	global_load_dwordx2 v[6:7], v8, s[38:39]
	s_waitcnt vmcnt(2)
	v_add_co_u32 v11, vcc_lo, v2, 1
	v_add_co_ci_u32_e32 v12, vcc_lo, 0, v3, vcc_lo
	v_add_co_u32 v0, vcc_lo, v11, s6
	v_add_co_ci_u32_e32 v1, vcc_lo, s7, v12, vcc_lo
	v_cmp_eq_u64_e32 vcc_lo, 0, v[0:1]
	v_cndmask_b32_e32 v1, v1, v12, vcc_lo
	v_cndmask_b32_e32 v0, v0, v11, vcc_lo
	v_and_b32_e32 v3, v1, v3
	v_and_b32_e32 v2, v0, v2
	v_mul_lo_u32 v3, v3, 24
	v_mul_hi_u32 v11, v2, 24
	v_mul_lo_u32 v2, v2, 24
	v_add_nc_u32_e32 v3, v11, v3
	s_waitcnt vmcnt(0)
	v_add_co_u32 v6, vcc_lo, v6, v2
	v_mov_b32_e32 v2, v9
	v_add_co_ci_u32_e32 v7, vcc_lo, v7, v3, vcc_lo
	v_mov_b32_e32 v3, v10
	global_store_dwordx2 v[6:7], v[9:10], off
	s_waitcnt_vscnt null, 0x0
	global_atomic_cmpswap_x2 v[2:3], v8, v[0:3], s[38:39] offset:24 glc
	s_waitcnt vmcnt(0)
	v_cmp_ne_u64_e32 vcc_lo, v[2:3], v[9:10]
	s_and_b32 exec_lo, exec_lo, vcc_lo
	s_cbranch_execz .LBB3_970
; %bb.968:
	s_mov_b32 s4, 0
.LBB3_969:                              ; =>This Inner Loop Header: Depth=1
	s_sleep 1
	global_store_dwordx2 v[6:7], v[2:3], off
	s_waitcnt_vscnt null, 0x0
	global_atomic_cmpswap_x2 v[9:10], v8, v[0:3], s[38:39] offset:24 glc
	s_waitcnt vmcnt(0)
	v_cmp_eq_u64_e32 vcc_lo, v[9:10], v[2:3]
	v_mov_b32_e32 v2, v9
	v_mov_b32_e32 v3, v10
	s_or_b32 s4, vcc_lo, s4
	s_andn2_b32 exec_lo, exec_lo, s4
	s_cbranch_execnz .LBB3_969
.LBB3_970:
	s_or_b32 exec_lo, exec_lo, s5
	v_readfirstlane_b32 s4, v51
	v_mov_b32_e32 v8, 0
	v_mov_b32_e32 v9, 0
	v_cmp_eq_u32_e64 s4, s4, v51
	s_and_saveexec_b32 s5, s4
	s_cbranch_execz .LBB3_976
; %bb.971:
	v_mov_b32_e32 v0, 0
	s_mov_b32 s6, exec_lo
	global_load_dwordx2 v[10:11], v0, s[38:39] offset:24 glc dlc
	s_waitcnt vmcnt(0)
	buffer_gl1_inv
	buffer_gl0_inv
	s_clause 0x1
	global_load_dwordx2 v[1:2], v0, s[38:39] offset:40
	global_load_dwordx2 v[6:7], v0, s[38:39]
	s_waitcnt vmcnt(1)
	v_and_b32_e32 v2, v2, v11
	v_and_b32_e32 v1, v1, v10
	v_mul_lo_u32 v2, v2, 24
	v_mul_hi_u32 v3, v1, 24
	v_mul_lo_u32 v1, v1, 24
	v_add_nc_u32_e32 v2, v3, v2
	s_waitcnt vmcnt(0)
	v_add_co_u32 v1, vcc_lo, v6, v1
	v_add_co_ci_u32_e32 v2, vcc_lo, v7, v2, vcc_lo
	global_load_dwordx2 v[8:9], v[1:2], off glc dlc
	s_waitcnt vmcnt(0)
	global_atomic_cmpswap_x2 v[8:9], v0, v[8:11], s[38:39] offset:24 glc
	s_waitcnt vmcnt(0)
	buffer_gl1_inv
	buffer_gl0_inv
	v_cmpx_ne_u64_e64 v[8:9], v[10:11]
	s_cbranch_execz .LBB3_975
; %bb.972:
	s_mov_b32 s7, 0
	.p2align	6
.LBB3_973:                              ; =>This Inner Loop Header: Depth=1
	s_sleep 1
	s_clause 0x1
	global_load_dwordx2 v[1:2], v0, s[38:39] offset:40
	global_load_dwordx2 v[6:7], v0, s[38:39]
	v_mov_b32_e32 v11, v9
	v_mov_b32_e32 v10, v8
	s_waitcnt vmcnt(1)
	v_and_b32_e32 v1, v1, v10
	v_and_b32_e32 v2, v2, v11
	s_waitcnt vmcnt(0)
	v_mad_u64_u32 v[6:7], null, v1, 24, v[6:7]
	v_mov_b32_e32 v1, v7
	v_mad_u64_u32 v[1:2], null, v2, 24, v[1:2]
	v_mov_b32_e32 v7, v1
	global_load_dwordx2 v[8:9], v[6:7], off glc dlc
	s_waitcnt vmcnt(0)
	global_atomic_cmpswap_x2 v[8:9], v0, v[8:11], s[38:39] offset:24 glc
	s_waitcnt vmcnt(0)
	buffer_gl1_inv
	buffer_gl0_inv
	v_cmp_eq_u64_e32 vcc_lo, v[8:9], v[10:11]
	s_or_b32 s7, vcc_lo, s7
	s_andn2_b32 exec_lo, exec_lo, s7
	s_cbranch_execnz .LBB3_973
; %bb.974:
	s_or_b32 exec_lo, exec_lo, s7
.LBB3_975:
	s_or_b32 exec_lo, exec_lo, s6
.LBB3_976:
	s_or_b32 exec_lo, exec_lo, s5
	v_mov_b32_e32 v7, 0
	v_readfirstlane_b32 s6, v8
	v_readfirstlane_b32 s7, v9
	s_mov_b32 s5, exec_lo
	s_clause 0x1
	global_load_dwordx2 v[10:11], v7, s[38:39] offset:40
	global_load_dwordx4 v[0:3], v7, s[38:39]
	s_waitcnt vmcnt(1)
	v_readfirstlane_b32 s10, v10
	v_readfirstlane_b32 s11, v11
	s_and_b64 s[10:11], s[6:7], s[10:11]
	s_mul_i32 s16, s11, 24
	s_mul_hi_u32 s17, s10, 24
	s_mul_i32 s18, s10, 24
	s_add_i32 s17, s17, s16
	s_waitcnt vmcnt(0)
	v_add_co_u32 v10, vcc_lo, v0, s18
	v_add_co_ci_u32_e32 v11, vcc_lo, s17, v1, vcc_lo
	s_and_saveexec_b32 s16, s4
	s_cbranch_execz .LBB3_978
; %bb.977:
	v_mov_b32_e32 v6, s5
	v_mov_b32_e32 v8, 2
	;; [unrolled: 1-line block ×3, first 2 shown]
	global_store_dwordx4 v[10:11], v[6:9], off offset:8
.LBB3_978:
	s_or_b32 exec_lo, exec_lo, s16
	s_lshl_b64 s[10:11], s[10:11], 12
	s_mov_b32 s16, 0
	v_add_co_u32 v2, vcc_lo, v2, s10
	v_add_co_ci_u32_e32 v3, vcc_lo, s11, v3, vcc_lo
	s_mov_b32 s17, s16
	v_add_co_u32 v12, vcc_lo, v2, v50
	s_mov_b32 s18, s16
	s_mov_b32 s19, s16
	v_mov_b32_e32 v6, 33
	v_mov_b32_e32 v8, v7
	;; [unrolled: 1-line block ×3, first 2 shown]
	v_readfirstlane_b32 s10, v2
	v_readfirstlane_b32 s11, v3
	v_mov_b32_e32 v14, s16
	v_add_co_ci_u32_e32 v13, vcc_lo, 0, v3, vcc_lo
	v_mov_b32_e32 v15, s17
	v_mov_b32_e32 v16, s18
	;; [unrolled: 1-line block ×3, first 2 shown]
	global_store_dwordx4 v50, v[6:9], s[10:11]
	global_store_dwordx4 v50, v[14:17], s[10:11] offset:16
	global_store_dwordx4 v50, v[14:17], s[10:11] offset:32
	;; [unrolled: 1-line block ×3, first 2 shown]
	s_and_saveexec_b32 s5, s4
	s_cbranch_execz .LBB3_986
; %bb.979:
	v_mov_b32_e32 v8, 0
	v_mov_b32_e32 v14, s6
	;; [unrolled: 1-line block ×3, first 2 shown]
	s_clause 0x1
	global_load_dwordx2 v[16:17], v8, s[38:39] offset:32 glc dlc
	global_load_dwordx2 v[2:3], v8, s[38:39] offset:40
	s_waitcnt vmcnt(0)
	v_readfirstlane_b32 s10, v2
	v_readfirstlane_b32 s11, v3
	s_and_b64 s[10:11], s[10:11], s[6:7]
	s_mul_i32 s11, s11, 24
	s_mul_hi_u32 s16, s10, 24
	s_mul_i32 s10, s10, 24
	s_add_i32 s16, s16, s11
	v_add_co_u32 v6, vcc_lo, v0, s10
	v_add_co_ci_u32_e32 v7, vcc_lo, s16, v1, vcc_lo
	s_mov_b32 s10, exec_lo
	global_store_dwordx2 v[6:7], v[16:17], off
	s_waitcnt_vscnt null, 0x0
	global_atomic_cmpswap_x2 v[2:3], v8, v[14:17], s[38:39] offset:32 glc
	s_waitcnt vmcnt(0)
	v_cmpx_ne_u64_e64 v[2:3], v[16:17]
	s_cbranch_execz .LBB3_982
; %bb.980:
	s_mov_b32 s11, 0
.LBB3_981:                              ; =>This Inner Loop Header: Depth=1
	v_mov_b32_e32 v0, s6
	v_mov_b32_e32 v1, s7
	s_sleep 1
	global_store_dwordx2 v[6:7], v[2:3], off
	s_waitcnt_vscnt null, 0x0
	global_atomic_cmpswap_x2 v[0:1], v8, v[0:3], s[38:39] offset:32 glc
	s_waitcnt vmcnt(0)
	v_cmp_eq_u64_e32 vcc_lo, v[0:1], v[2:3]
	v_mov_b32_e32 v3, v1
	v_mov_b32_e32 v2, v0
	s_or_b32 s11, vcc_lo, s11
	s_andn2_b32 exec_lo, exec_lo, s11
	s_cbranch_execnz .LBB3_981
.LBB3_982:
	s_or_b32 exec_lo, exec_lo, s10
	v_mov_b32_e32 v3, 0
	s_mov_b32 s11, exec_lo
	s_mov_b32 s10, exec_lo
	v_mbcnt_lo_u32_b32 v2, s11, 0
	global_load_dwordx2 v[0:1], v3, s[38:39] offset:16
	v_cmpx_eq_u32_e32 0, v2
	s_cbranch_execz .LBB3_984
; %bb.983:
	s_bcnt1_i32_b32 s11, s11
	v_mov_b32_e32 v2, s11
	s_waitcnt vmcnt(0)
	global_atomic_add_x2 v[0:1], v[2:3], off offset:8
.LBB3_984:
	s_or_b32 exec_lo, exec_lo, s10
	s_waitcnt vmcnt(0)
	global_load_dwordx2 v[2:3], v[0:1], off offset:16
	s_waitcnt vmcnt(0)
	v_cmp_eq_u64_e32 vcc_lo, 0, v[2:3]
	s_cbranch_vccnz .LBB3_986
; %bb.985:
	global_load_dword v0, v[0:1], off offset:24
	v_mov_b32_e32 v1, 0
	s_waitcnt vmcnt(0)
	v_and_b32_e32 v6, 0x7fffff, v0
	s_waitcnt_vscnt null, 0x0
	global_store_dwordx2 v[2:3], v[0:1], off
	v_readfirstlane_b32 m0, v6
	s_sendmsg sendmsg(MSG_INTERRUPT)
.LBB3_986:
	s_or_b32 exec_lo, exec_lo, s5
	s_branch .LBB3_990
	.p2align	6
.LBB3_987:                              ;   in Loop: Header=BB3_990 Depth=1
	s_or_b32 exec_lo, exec_lo, s5
	v_readfirstlane_b32 s5, v0
	s_cmp_eq_u32 s5, 0
	s_cbranch_scc1 .LBB3_989
; %bb.988:                              ;   in Loop: Header=BB3_990 Depth=1
	s_sleep 1
	s_cbranch_execnz .LBB3_990
	s_branch .LBB3_992
	.p2align	6
.LBB3_989:
	s_branch .LBB3_992
.LBB3_990:                              ; =>This Inner Loop Header: Depth=1
	v_mov_b32_e32 v0, 1
	s_and_saveexec_b32 s5, s4
	s_cbranch_execz .LBB3_987
; %bb.991:                              ;   in Loop: Header=BB3_990 Depth=1
	global_load_dword v0, v[10:11], off offset:20 glc dlc
	s_waitcnt vmcnt(0)
	buffer_gl1_inv
	buffer_gl0_inv
	v_and_b32_e32 v0, 1, v0
	s_branch .LBB3_987
.LBB3_992:
	global_load_dwordx2 v[0:1], v[12:13], off
	s_and_saveexec_b32 s5, s4
	s_cbranch_execz .LBB3_996
; %bb.993:
	v_mov_b32_e32 v10, 0
	s_clause 0x2
	global_load_dwordx2 v[2:3], v10, s[38:39] offset:40
	global_load_dwordx2 v[11:12], v10, s[38:39] offset:24 glc dlc
	global_load_dwordx2 v[8:9], v10, s[38:39]
	s_waitcnt vmcnt(2)
	v_add_co_u32 v13, vcc_lo, v2, 1
	v_add_co_ci_u32_e32 v14, vcc_lo, 0, v3, vcc_lo
	v_add_co_u32 v6, vcc_lo, v13, s6
	v_add_co_ci_u32_e32 v7, vcc_lo, s7, v14, vcc_lo
	v_cmp_eq_u64_e32 vcc_lo, 0, v[6:7]
	v_cndmask_b32_e32 v7, v7, v14, vcc_lo
	v_cndmask_b32_e32 v6, v6, v13, vcc_lo
	v_and_b32_e32 v3, v7, v3
	v_and_b32_e32 v2, v6, v2
	v_mul_lo_u32 v3, v3, 24
	v_mul_hi_u32 v13, v2, 24
	v_mul_lo_u32 v2, v2, 24
	v_add_nc_u32_e32 v3, v13, v3
	s_waitcnt vmcnt(0)
	v_add_co_u32 v2, vcc_lo, v8, v2
	v_mov_b32_e32 v8, v11
	v_add_co_ci_u32_e32 v3, vcc_lo, v9, v3, vcc_lo
	v_mov_b32_e32 v9, v12
	global_store_dwordx2 v[2:3], v[11:12], off
	s_waitcnt_vscnt null, 0x0
	global_atomic_cmpswap_x2 v[8:9], v10, v[6:9], s[38:39] offset:24 glc
	s_waitcnt vmcnt(0)
	v_cmp_ne_u64_e32 vcc_lo, v[8:9], v[11:12]
	s_and_b32 exec_lo, exec_lo, vcc_lo
	s_cbranch_execz .LBB3_996
; %bb.994:
	s_mov_b32 s4, 0
.LBB3_995:                              ; =>This Inner Loop Header: Depth=1
	s_sleep 1
	global_store_dwordx2 v[2:3], v[8:9], off
	s_waitcnt_vscnt null, 0x0
	global_atomic_cmpswap_x2 v[11:12], v10, v[6:9], s[38:39] offset:24 glc
	s_waitcnt vmcnt(0)
	v_cmp_eq_u64_e32 vcc_lo, v[11:12], v[8:9]
	v_mov_b32_e32 v8, v11
	v_mov_b32_e32 v9, v12
	s_or_b32 s4, vcc_lo, s4
	s_andn2_b32 exec_lo, exec_lo, s4
	s_cbranch_execnz .LBB3_995
.LBB3_996:
	s_or_b32 exec_lo, exec_lo, s5
	s_and_b32 vcc_lo, exec_lo, s42
	s_cbranch_vccz .LBB3_1075
; %bb.997:
	s_waitcnt vmcnt(0)
	v_and_b32_e32 v33, 2, v0
	v_mov_b32_e32 v10, 0
	v_and_b32_e32 v6, -3, v0
	v_mov_b32_e32 v7, v1
	v_mov_b32_e32 v11, 2
	v_mov_b32_e32 v12, 1
	s_mov_b64 s[10:11], 3
	s_getpc_b64 s[6:7]
	s_add_u32 s6, s6, .str.9@rel32@lo+4
	s_addc_u32 s7, s7, .str.9@rel32@hi+12
	s_branch .LBB3_999
.LBB3_998:                              ;   in Loop: Header=BB3_999 Depth=1
	s_or_b32 exec_lo, exec_lo, s5
	s_sub_u32 s10, s10, s16
	s_subb_u32 s11, s11, s17
	s_add_u32 s6, s6, s16
	s_addc_u32 s7, s7, s17
	s_cmp_lg_u64 s[10:11], 0
	s_cbranch_scc0 .LBB3_1074
.LBB3_999:                              ; =>This Loop Header: Depth=1
                                        ;     Child Loop BB3_1008 Depth 2
                                        ;     Child Loop BB3_1004 Depth 2
	;; [unrolled: 1-line block ×11, first 2 shown]
	v_cmp_lt_u64_e64 s4, s[10:11], 56
	v_cmp_gt_u64_e64 s5, s[10:11], 7
                                        ; implicit-def: $vgpr15_vgpr16
                                        ; implicit-def: $sgpr22
	s_and_b32 s4, s4, exec_lo
	s_cselect_b32 s17, s11, 0
	s_cselect_b32 s16, s10, 56
	s_and_b32 vcc_lo, exec_lo, s5
	s_mov_b32 s4, -1
	s_cbranch_vccz .LBB3_1006
; %bb.1000:                             ;   in Loop: Header=BB3_999 Depth=1
	s_andn2_b32 vcc_lo, exec_lo, s4
	s_mov_b64 s[4:5], s[6:7]
	s_cbranch_vccz .LBB3_1010
.LBB3_1001:                             ;   in Loop: Header=BB3_999 Depth=1
	s_cmp_gt_u32 s22, 7
	s_cbranch_scc1 .LBB3_1011
.LBB3_1002:                             ;   in Loop: Header=BB3_999 Depth=1
	v_mov_b32_e32 v17, 0
	v_mov_b32_e32 v18, 0
	s_cmp_eq_u32 s22, 0
	s_cbranch_scc1 .LBB3_1005
; %bb.1003:                             ;   in Loop: Header=BB3_999 Depth=1
	s_mov_b64 s[18:19], 0
	s_mov_b64 s[20:21], 0
.LBB3_1004:                             ;   Parent Loop BB3_999 Depth=1
                                        ; =>  This Inner Loop Header: Depth=2
	s_add_u32 s24, s4, s20
	s_addc_u32 s25, s5, s21
	s_add_u32 s20, s20, 1
	global_load_ubyte v2, v10, s[24:25]
	s_addc_u32 s21, s21, 0
	s_waitcnt vmcnt(0)
	v_and_b32_e32 v9, 0xffff, v2
	v_lshlrev_b64 v[2:3], s18, v[9:10]
	s_add_u32 s18, s18, 8
	s_addc_u32 s19, s19, 0
	s_cmp_lg_u32 s22, s20
	v_or_b32_e32 v17, v2, v17
	v_or_b32_e32 v18, v3, v18
	s_cbranch_scc1 .LBB3_1004
.LBB3_1005:                             ;   in Loop: Header=BB3_999 Depth=1
	s_mov_b32 s23, 0
	s_cbranch_execz .LBB3_1012
	s_branch .LBB3_1013
.LBB3_1006:                             ;   in Loop: Header=BB3_999 Depth=1
	v_mov_b32_e32 v15, 0
	v_mov_b32_e32 v16, 0
	s_cmp_eq_u64 s[10:11], 0
	s_mov_b64 s[4:5], 0
	s_cbranch_scc1 .LBB3_1009
; %bb.1007:                             ;   in Loop: Header=BB3_999 Depth=1
	v_mov_b32_e32 v15, 0
	v_mov_b32_e32 v16, 0
	s_lshl_b64 s[18:19], s[16:17], 3
	s_mov_b64 s[20:21], s[6:7]
.LBB3_1008:                             ;   Parent Loop BB3_999 Depth=1
                                        ; =>  This Inner Loop Header: Depth=2
	global_load_ubyte v2, v10, s[20:21]
	s_waitcnt vmcnt(0)
	v_and_b32_e32 v9, 0xffff, v2
	v_lshlrev_b64 v[2:3], s4, v[9:10]
	s_add_u32 s4, s4, 8
	s_addc_u32 s5, s5, 0
	s_add_u32 s20, s20, 1
	s_addc_u32 s21, s21, 0
	s_cmp_lg_u32 s18, s4
	v_or_b32_e32 v15, v2, v15
	v_or_b32_e32 v16, v3, v16
	s_cbranch_scc1 .LBB3_1008
.LBB3_1009:                             ;   in Loop: Header=BB3_999 Depth=1
	s_mov_b32 s22, 0
	s_mov_b64 s[4:5], s[6:7]
	s_cbranch_execnz .LBB3_1001
.LBB3_1010:                             ;   in Loop: Header=BB3_999 Depth=1
	global_load_dwordx2 v[15:16], v10, s[6:7]
	s_add_i32 s22, s16, -8
	s_add_u32 s4, s6, 8
	s_addc_u32 s5, s7, 0
	s_cmp_gt_u32 s22, 7
	s_cbranch_scc0 .LBB3_1002
.LBB3_1011:                             ;   in Loop: Header=BB3_999 Depth=1
                                        ; implicit-def: $vgpr17_vgpr18
                                        ; implicit-def: $sgpr23
.LBB3_1012:                             ;   in Loop: Header=BB3_999 Depth=1
	global_load_dwordx2 v[17:18], v10, s[4:5]
	s_add_i32 s23, s22, -8
	s_add_u32 s4, s4, 8
	s_addc_u32 s5, s5, 0
.LBB3_1013:                             ;   in Loop: Header=BB3_999 Depth=1
	s_cmp_gt_u32 s23, 7
	s_cbranch_scc1 .LBB3_1018
; %bb.1014:                             ;   in Loop: Header=BB3_999 Depth=1
	v_mov_b32_e32 v19, 0
	v_mov_b32_e32 v20, 0
	s_cmp_eq_u32 s23, 0
	s_cbranch_scc1 .LBB3_1017
; %bb.1015:                             ;   in Loop: Header=BB3_999 Depth=1
	s_mov_b64 s[18:19], 0
	s_mov_b64 s[20:21], 0
.LBB3_1016:                             ;   Parent Loop BB3_999 Depth=1
                                        ; =>  This Inner Loop Header: Depth=2
	s_add_u32 s24, s4, s20
	s_addc_u32 s25, s5, s21
	s_add_u32 s20, s20, 1
	global_load_ubyte v2, v10, s[24:25]
	s_addc_u32 s21, s21, 0
	s_waitcnt vmcnt(0)
	v_and_b32_e32 v9, 0xffff, v2
	v_lshlrev_b64 v[2:3], s18, v[9:10]
	s_add_u32 s18, s18, 8
	s_addc_u32 s19, s19, 0
	s_cmp_lg_u32 s23, s20
	v_or_b32_e32 v19, v2, v19
	v_or_b32_e32 v20, v3, v20
	s_cbranch_scc1 .LBB3_1016
.LBB3_1017:                             ;   in Loop: Header=BB3_999 Depth=1
	s_mov_b32 s22, 0
	s_cbranch_execz .LBB3_1019
	s_branch .LBB3_1020
.LBB3_1018:                             ;   in Loop: Header=BB3_999 Depth=1
                                        ; implicit-def: $sgpr22
.LBB3_1019:                             ;   in Loop: Header=BB3_999 Depth=1
	global_load_dwordx2 v[19:20], v10, s[4:5]
	s_add_i32 s22, s23, -8
	s_add_u32 s4, s4, 8
	s_addc_u32 s5, s5, 0
.LBB3_1020:                             ;   in Loop: Header=BB3_999 Depth=1
	s_cmp_gt_u32 s22, 7
	s_cbranch_scc1 .LBB3_1025
; %bb.1021:                             ;   in Loop: Header=BB3_999 Depth=1
	v_mov_b32_e32 v21, 0
	v_mov_b32_e32 v22, 0
	s_cmp_eq_u32 s22, 0
	s_cbranch_scc1 .LBB3_1024
; %bb.1022:                             ;   in Loop: Header=BB3_999 Depth=1
	s_mov_b64 s[18:19], 0
	s_mov_b64 s[20:21], 0
.LBB3_1023:                             ;   Parent Loop BB3_999 Depth=1
                                        ; =>  This Inner Loop Header: Depth=2
	s_add_u32 s24, s4, s20
	s_addc_u32 s25, s5, s21
	s_add_u32 s20, s20, 1
	global_load_ubyte v2, v10, s[24:25]
	s_addc_u32 s21, s21, 0
	s_waitcnt vmcnt(0)
	v_and_b32_e32 v9, 0xffff, v2
	v_lshlrev_b64 v[2:3], s18, v[9:10]
	s_add_u32 s18, s18, 8
	s_addc_u32 s19, s19, 0
	s_cmp_lg_u32 s22, s20
	v_or_b32_e32 v21, v2, v21
	v_or_b32_e32 v22, v3, v22
	s_cbranch_scc1 .LBB3_1023
.LBB3_1024:                             ;   in Loop: Header=BB3_999 Depth=1
	s_mov_b32 s23, 0
	s_cbranch_execz .LBB3_1026
	s_branch .LBB3_1027
.LBB3_1025:                             ;   in Loop: Header=BB3_999 Depth=1
                                        ; implicit-def: $vgpr21_vgpr22
                                        ; implicit-def: $sgpr23
.LBB3_1026:                             ;   in Loop: Header=BB3_999 Depth=1
	global_load_dwordx2 v[21:22], v10, s[4:5]
	s_add_i32 s23, s22, -8
	s_add_u32 s4, s4, 8
	s_addc_u32 s5, s5, 0
.LBB3_1027:                             ;   in Loop: Header=BB3_999 Depth=1
	s_cmp_gt_u32 s23, 7
	s_cbranch_scc1 .LBB3_1032
; %bb.1028:                             ;   in Loop: Header=BB3_999 Depth=1
	v_mov_b32_e32 v23, 0
	v_mov_b32_e32 v24, 0
	s_cmp_eq_u32 s23, 0
	s_cbranch_scc1 .LBB3_1031
; %bb.1029:                             ;   in Loop: Header=BB3_999 Depth=1
	s_mov_b64 s[18:19], 0
	s_mov_b64 s[20:21], 0
.LBB3_1030:                             ;   Parent Loop BB3_999 Depth=1
                                        ; =>  This Inner Loop Header: Depth=2
	s_add_u32 s24, s4, s20
	s_addc_u32 s25, s5, s21
	s_add_u32 s20, s20, 1
	global_load_ubyte v2, v10, s[24:25]
	s_addc_u32 s21, s21, 0
	s_waitcnt vmcnt(0)
	v_and_b32_e32 v9, 0xffff, v2
	v_lshlrev_b64 v[2:3], s18, v[9:10]
	s_add_u32 s18, s18, 8
	s_addc_u32 s19, s19, 0
	s_cmp_lg_u32 s23, s20
	v_or_b32_e32 v23, v2, v23
	v_or_b32_e32 v24, v3, v24
	s_cbranch_scc1 .LBB3_1030
.LBB3_1031:                             ;   in Loop: Header=BB3_999 Depth=1
	s_mov_b32 s22, 0
	s_cbranch_execz .LBB3_1033
	s_branch .LBB3_1034
.LBB3_1032:                             ;   in Loop: Header=BB3_999 Depth=1
                                        ; implicit-def: $sgpr22
.LBB3_1033:                             ;   in Loop: Header=BB3_999 Depth=1
	global_load_dwordx2 v[23:24], v10, s[4:5]
	s_add_i32 s22, s23, -8
	s_add_u32 s4, s4, 8
	s_addc_u32 s5, s5, 0
.LBB3_1034:                             ;   in Loop: Header=BB3_999 Depth=1
	s_cmp_gt_u32 s22, 7
	s_cbranch_scc1 .LBB3_1039
; %bb.1035:                             ;   in Loop: Header=BB3_999 Depth=1
	v_mov_b32_e32 v25, 0
	v_mov_b32_e32 v26, 0
	s_cmp_eq_u32 s22, 0
	s_cbranch_scc1 .LBB3_1038
; %bb.1036:                             ;   in Loop: Header=BB3_999 Depth=1
	s_mov_b64 s[18:19], 0
	s_mov_b64 s[20:21], 0
.LBB3_1037:                             ;   Parent Loop BB3_999 Depth=1
                                        ; =>  This Inner Loop Header: Depth=2
	s_add_u32 s24, s4, s20
	s_addc_u32 s25, s5, s21
	s_add_u32 s20, s20, 1
	global_load_ubyte v2, v10, s[24:25]
	s_addc_u32 s21, s21, 0
	s_waitcnt vmcnt(0)
	v_and_b32_e32 v9, 0xffff, v2
	v_lshlrev_b64 v[2:3], s18, v[9:10]
	s_add_u32 s18, s18, 8
	s_addc_u32 s19, s19, 0
	s_cmp_lg_u32 s22, s20
	v_or_b32_e32 v25, v2, v25
	v_or_b32_e32 v26, v3, v26
	s_cbranch_scc1 .LBB3_1037
.LBB3_1038:                             ;   in Loop: Header=BB3_999 Depth=1
	s_mov_b32 s23, 0
	s_cbranch_execz .LBB3_1040
	s_branch .LBB3_1041
.LBB3_1039:                             ;   in Loop: Header=BB3_999 Depth=1
                                        ; implicit-def: $vgpr25_vgpr26
                                        ; implicit-def: $sgpr23
.LBB3_1040:                             ;   in Loop: Header=BB3_999 Depth=1
	global_load_dwordx2 v[25:26], v10, s[4:5]
	s_add_i32 s23, s22, -8
	s_add_u32 s4, s4, 8
	s_addc_u32 s5, s5, 0
.LBB3_1041:                             ;   in Loop: Header=BB3_999 Depth=1
	s_cmp_gt_u32 s23, 7
	s_cbranch_scc1 .LBB3_1046
; %bb.1042:                             ;   in Loop: Header=BB3_999 Depth=1
	v_mov_b32_e32 v27, 0
	v_mov_b32_e32 v28, 0
	s_cmp_eq_u32 s23, 0
	s_cbranch_scc1 .LBB3_1045
; %bb.1043:                             ;   in Loop: Header=BB3_999 Depth=1
	s_mov_b64 s[18:19], 0
	s_mov_b64 s[20:21], s[4:5]
.LBB3_1044:                             ;   Parent Loop BB3_999 Depth=1
                                        ; =>  This Inner Loop Header: Depth=2
	global_load_ubyte v2, v10, s[20:21]
	s_add_i32 s23, s23, -1
	s_waitcnt vmcnt(0)
	v_and_b32_e32 v9, 0xffff, v2
	v_lshlrev_b64 v[2:3], s18, v[9:10]
	s_add_u32 s18, s18, 8
	s_addc_u32 s19, s19, 0
	s_add_u32 s20, s20, 1
	s_addc_u32 s21, s21, 0
	s_cmp_lg_u32 s23, 0
	v_or_b32_e32 v27, v2, v27
	v_or_b32_e32 v28, v3, v28
	s_cbranch_scc1 .LBB3_1044
.LBB3_1045:                             ;   in Loop: Header=BB3_999 Depth=1
	s_cbranch_execz .LBB3_1047
	s_branch .LBB3_1048
.LBB3_1046:                             ;   in Loop: Header=BB3_999 Depth=1
.LBB3_1047:                             ;   in Loop: Header=BB3_999 Depth=1
	global_load_dwordx2 v[27:28], v10, s[4:5]
.LBB3_1048:                             ;   in Loop: Header=BB3_999 Depth=1
	v_readfirstlane_b32 s4, v51
	v_mov_b32_e32 v2, 0
	v_mov_b32_e32 v3, 0
	v_cmp_eq_u32_e64 s4, s4, v51
	s_and_saveexec_b32 s5, s4
	s_cbranch_execz .LBB3_1054
; %bb.1049:                             ;   in Loop: Header=BB3_999 Depth=1
	global_load_dwordx2 v[31:32], v10, s[38:39] offset:24 glc dlc
	s_waitcnt vmcnt(0)
	buffer_gl1_inv
	buffer_gl0_inv
	s_clause 0x1
	global_load_dwordx2 v[2:3], v10, s[38:39] offset:40
	global_load_dwordx2 v[8:9], v10, s[38:39]
	s_mov_b32 s18, exec_lo
	s_waitcnt vmcnt(1)
	v_and_b32_e32 v3, v3, v32
	v_and_b32_e32 v2, v2, v31
	v_mul_lo_u32 v3, v3, 24
	v_mul_hi_u32 v13, v2, 24
	v_mul_lo_u32 v2, v2, 24
	v_add_nc_u32_e32 v3, v13, v3
	s_waitcnt vmcnt(0)
	v_add_co_u32 v2, vcc_lo, v8, v2
	v_add_co_ci_u32_e32 v3, vcc_lo, v9, v3, vcc_lo
	global_load_dwordx2 v[29:30], v[2:3], off glc dlc
	s_waitcnt vmcnt(0)
	global_atomic_cmpswap_x2 v[2:3], v10, v[29:32], s[38:39] offset:24 glc
	s_waitcnt vmcnt(0)
	buffer_gl1_inv
	buffer_gl0_inv
	v_cmpx_ne_u64_e64 v[2:3], v[31:32]
	s_cbranch_execz .LBB3_1053
; %bb.1050:                             ;   in Loop: Header=BB3_999 Depth=1
	s_mov_b32 s19, 0
	.p2align	6
.LBB3_1051:                             ;   Parent Loop BB3_999 Depth=1
                                        ; =>  This Inner Loop Header: Depth=2
	s_sleep 1
	s_clause 0x1
	global_load_dwordx2 v[8:9], v10, s[38:39] offset:40
	global_load_dwordx2 v[13:14], v10, s[38:39]
	v_mov_b32_e32 v32, v3
	v_mov_b32_e32 v31, v2
	s_waitcnt vmcnt(1)
	v_and_b32_e32 v2, v8, v31
	v_and_b32_e32 v8, v9, v32
	s_waitcnt vmcnt(0)
	v_mad_u64_u32 v[2:3], null, v2, 24, v[13:14]
	v_mad_u64_u32 v[8:9], null, v8, 24, v[3:4]
	v_mov_b32_e32 v3, v8
	global_load_dwordx2 v[29:30], v[2:3], off glc dlc
	s_waitcnt vmcnt(0)
	global_atomic_cmpswap_x2 v[2:3], v10, v[29:32], s[38:39] offset:24 glc
	s_waitcnt vmcnt(0)
	buffer_gl1_inv
	buffer_gl0_inv
	v_cmp_eq_u64_e32 vcc_lo, v[2:3], v[31:32]
	s_or_b32 s19, vcc_lo, s19
	s_andn2_b32 exec_lo, exec_lo, s19
	s_cbranch_execnz .LBB3_1051
; %bb.1052:                             ;   in Loop: Header=BB3_999 Depth=1
	s_or_b32 exec_lo, exec_lo, s19
.LBB3_1053:                             ;   in Loop: Header=BB3_999 Depth=1
	s_or_b32 exec_lo, exec_lo, s18
.LBB3_1054:                             ;   in Loop: Header=BB3_999 Depth=1
	s_or_b32 exec_lo, exec_lo, s5
	s_clause 0x1
	global_load_dwordx2 v[8:9], v10, s[38:39] offset:40
	global_load_dwordx4 v[29:32], v10, s[38:39]
	v_readfirstlane_b32 s18, v2
	v_readfirstlane_b32 s19, v3
	s_mov_b32 s5, exec_lo
	s_waitcnt vmcnt(1)
	v_readfirstlane_b32 s20, v8
	v_readfirstlane_b32 s21, v9
	s_and_b64 s[20:21], s[18:19], s[20:21]
	s_mul_i32 s22, s21, 24
	s_mul_hi_u32 s23, s20, 24
	s_mul_i32 s24, s20, 24
	s_add_i32 s23, s23, s22
	s_waitcnt vmcnt(0)
	v_add_co_u32 v2, vcc_lo, v29, s24
	v_add_co_ci_u32_e32 v3, vcc_lo, s23, v30, vcc_lo
	s_and_saveexec_b32 s22, s4
	s_cbranch_execz .LBB3_1056
; %bb.1055:                             ;   in Loop: Header=BB3_999 Depth=1
	v_mov_b32_e32 v9, s5
	global_store_dwordx4 v[2:3], v[9:12], off offset:8
.LBB3_1056:                             ;   in Loop: Header=BB3_999 Depth=1
	s_or_b32 exec_lo, exec_lo, s22
	s_lshl_b64 s[20:21], s[20:21], 12
	v_cmp_gt_u64_e64 vcc_lo, s[10:11], 56
	v_or_b32_e32 v9, v6, v33
	v_add_co_u32 v31, s5, v31, s20
	v_add_co_ci_u32_e64 v32, s5, s21, v32, s5
	s_lshl_b32 s5, s16, 2
	v_or_b32_e32 v8, 0, v7
	v_cndmask_b32_e32 v6, v9, v6, vcc_lo
	s_add_i32 s5, s5, 28
	v_readfirstlane_b32 s20, v31
	s_and_b32 s5, s5, 0x1e0
	v_cndmask_b32_e32 v14, v8, v7, vcc_lo
	v_readfirstlane_b32 s21, v32
	v_and_or_b32 v13, 0xffffff1f, v6, s5
	global_store_dwordx4 v50, v[13:16], s[20:21]
	global_store_dwordx4 v50, v[17:20], s[20:21] offset:16
	global_store_dwordx4 v50, v[21:24], s[20:21] offset:32
	;; [unrolled: 1-line block ×3, first 2 shown]
	s_and_saveexec_b32 s5, s4
	s_cbranch_execz .LBB3_1064
; %bb.1057:                             ;   in Loop: Header=BB3_999 Depth=1
	s_clause 0x1
	global_load_dwordx2 v[17:18], v10, s[38:39] offset:32 glc dlc
	global_load_dwordx2 v[6:7], v10, s[38:39] offset:40
	v_mov_b32_e32 v15, s18
	v_mov_b32_e32 v16, s19
	s_waitcnt vmcnt(0)
	v_readfirstlane_b32 s20, v6
	v_readfirstlane_b32 s21, v7
	s_and_b64 s[20:21], s[20:21], s[18:19]
	s_mul_i32 s21, s21, 24
	s_mul_hi_u32 s22, s20, 24
	s_mul_i32 s20, s20, 24
	s_add_i32 s22, s22, s21
	v_add_co_u32 v13, vcc_lo, v29, s20
	v_add_co_ci_u32_e32 v14, vcc_lo, s22, v30, vcc_lo
	s_mov_b32 s20, exec_lo
	global_store_dwordx2 v[13:14], v[17:18], off
	s_waitcnt_vscnt null, 0x0
	global_atomic_cmpswap_x2 v[8:9], v10, v[15:18], s[38:39] offset:32 glc
	s_waitcnt vmcnt(0)
	v_cmpx_ne_u64_e64 v[8:9], v[17:18]
	s_cbranch_execz .LBB3_1060
; %bb.1058:                             ;   in Loop: Header=BB3_999 Depth=1
	s_mov_b32 s21, 0
.LBB3_1059:                             ;   Parent Loop BB3_999 Depth=1
                                        ; =>  This Inner Loop Header: Depth=2
	v_mov_b32_e32 v6, s18
	v_mov_b32_e32 v7, s19
	s_sleep 1
	global_store_dwordx2 v[13:14], v[8:9], off
	s_waitcnt_vscnt null, 0x0
	global_atomic_cmpswap_x2 v[6:7], v10, v[6:9], s[38:39] offset:32 glc
	s_waitcnt vmcnt(0)
	v_cmp_eq_u64_e32 vcc_lo, v[6:7], v[8:9]
	v_mov_b32_e32 v9, v7
	v_mov_b32_e32 v8, v6
	s_or_b32 s21, vcc_lo, s21
	s_andn2_b32 exec_lo, exec_lo, s21
	s_cbranch_execnz .LBB3_1059
.LBB3_1060:                             ;   in Loop: Header=BB3_999 Depth=1
	s_or_b32 exec_lo, exec_lo, s20
	global_load_dwordx2 v[6:7], v10, s[38:39] offset:16
	s_mov_b32 s21, exec_lo
	s_mov_b32 s20, exec_lo
	v_mbcnt_lo_u32_b32 v8, s21, 0
	v_cmpx_eq_u32_e32 0, v8
	s_cbranch_execz .LBB3_1062
; %bb.1061:                             ;   in Loop: Header=BB3_999 Depth=1
	s_bcnt1_i32_b32 s21, s21
	v_mov_b32_e32 v9, s21
	s_waitcnt vmcnt(0)
	global_atomic_add_x2 v[6:7], v[9:10], off offset:8
.LBB3_1062:                             ;   in Loop: Header=BB3_999 Depth=1
	s_or_b32 exec_lo, exec_lo, s20
	s_waitcnt vmcnt(0)
	global_load_dwordx2 v[13:14], v[6:7], off offset:16
	s_waitcnt vmcnt(0)
	v_cmp_eq_u64_e32 vcc_lo, 0, v[13:14]
	s_cbranch_vccnz .LBB3_1064
; %bb.1063:                             ;   in Loop: Header=BB3_999 Depth=1
	global_load_dword v9, v[6:7], off offset:24
	s_waitcnt vmcnt(0)
	v_and_b32_e32 v6, 0x7fffff, v9
	s_waitcnt_vscnt null, 0x0
	global_store_dwordx2 v[13:14], v[9:10], off
	v_readfirstlane_b32 m0, v6
	s_sendmsg sendmsg(MSG_INTERRUPT)
.LBB3_1064:                             ;   in Loop: Header=BB3_999 Depth=1
	s_or_b32 exec_lo, exec_lo, s5
	v_add_co_u32 v6, vcc_lo, v31, v50
	v_add_co_ci_u32_e32 v7, vcc_lo, 0, v32, vcc_lo
	s_branch .LBB3_1068
	.p2align	6
.LBB3_1065:                             ;   in Loop: Header=BB3_1068 Depth=2
	s_or_b32 exec_lo, exec_lo, s5
	v_readfirstlane_b32 s5, v8
	s_cmp_eq_u32 s5, 0
	s_cbranch_scc1 .LBB3_1067
; %bb.1066:                             ;   in Loop: Header=BB3_1068 Depth=2
	s_sleep 1
	s_cbranch_execnz .LBB3_1068
	s_branch .LBB3_1070
	.p2align	6
.LBB3_1067:                             ;   in Loop: Header=BB3_999 Depth=1
	s_branch .LBB3_1070
.LBB3_1068:                             ;   Parent Loop BB3_999 Depth=1
                                        ; =>  This Inner Loop Header: Depth=2
	v_mov_b32_e32 v8, 1
	s_and_saveexec_b32 s5, s4
	s_cbranch_execz .LBB3_1065
; %bb.1069:                             ;   in Loop: Header=BB3_1068 Depth=2
	global_load_dword v8, v[2:3], off offset:20 glc dlc
	s_waitcnt vmcnt(0)
	buffer_gl1_inv
	buffer_gl0_inv
	v_and_b32_e32 v8, 1, v8
	s_branch .LBB3_1065
.LBB3_1070:                             ;   in Loop: Header=BB3_999 Depth=1
	global_load_dwordx4 v[6:9], v[6:7], off
	s_and_saveexec_b32 s5, s4
	s_cbranch_execz .LBB3_998
; %bb.1071:                             ;   in Loop: Header=BB3_999 Depth=1
	s_clause 0x2
	global_load_dwordx2 v[2:3], v10, s[38:39] offset:40
	global_load_dwordx2 v[8:9], v10, s[38:39] offset:24 glc dlc
	global_load_dwordx2 v[15:16], v10, s[38:39]
	s_waitcnt vmcnt(2)
	v_add_co_u32 v17, vcc_lo, v2, 1
	v_add_co_ci_u32_e32 v18, vcc_lo, 0, v3, vcc_lo
	v_add_co_u32 v13, vcc_lo, v17, s18
	v_add_co_ci_u32_e32 v14, vcc_lo, s19, v18, vcc_lo
	v_cmp_eq_u64_e32 vcc_lo, 0, v[13:14]
	v_cndmask_b32_e32 v14, v14, v18, vcc_lo
	v_cndmask_b32_e32 v13, v13, v17, vcc_lo
	v_and_b32_e32 v3, v14, v3
	v_and_b32_e32 v2, v13, v2
	v_mul_lo_u32 v3, v3, 24
	v_mul_hi_u32 v17, v2, 24
	v_mul_lo_u32 v2, v2, 24
	v_add_nc_u32_e32 v3, v17, v3
	s_waitcnt vmcnt(0)
	v_add_co_u32 v2, vcc_lo, v15, v2
	v_mov_b32_e32 v15, v8
	v_add_co_ci_u32_e32 v3, vcc_lo, v16, v3, vcc_lo
	v_mov_b32_e32 v16, v9
	global_store_dwordx2 v[2:3], v[8:9], off
	s_waitcnt_vscnt null, 0x0
	global_atomic_cmpswap_x2 v[15:16], v10, v[13:16], s[38:39] offset:24 glc
	s_waitcnt vmcnt(0)
	v_cmp_ne_u64_e32 vcc_lo, v[15:16], v[8:9]
	s_and_b32 exec_lo, exec_lo, vcc_lo
	s_cbranch_execz .LBB3_998
; %bb.1072:                             ;   in Loop: Header=BB3_999 Depth=1
	s_mov_b32 s4, 0
.LBB3_1073:                             ;   Parent Loop BB3_999 Depth=1
                                        ; =>  This Inner Loop Header: Depth=2
	s_sleep 1
	global_store_dwordx2 v[2:3], v[15:16], off
	s_waitcnt_vscnt null, 0x0
	global_atomic_cmpswap_x2 v[8:9], v10, v[13:16], s[38:39] offset:24 glc
	s_waitcnt vmcnt(0)
	v_cmp_eq_u64_e32 vcc_lo, v[8:9], v[15:16]
	v_mov_b32_e32 v16, v9
	v_mov_b32_e32 v15, v8
	s_or_b32 s4, vcc_lo, s4
	s_andn2_b32 exec_lo, exec_lo, s4
	s_cbranch_execnz .LBB3_1073
	s_branch .LBB3_998
.LBB3_1074:
	s_branch .LBB3_1103
.LBB3_1075:
                                        ; implicit-def: $vgpr6_vgpr7
	s_cbranch_execz .LBB3_1103
; %bb.1076:
	v_readfirstlane_b32 s4, v51
	v_mov_b32_e32 v10, 0
	v_mov_b32_e32 v11, 0
	v_cmp_eq_u32_e64 s4, s4, v51
	s_and_saveexec_b32 s5, s4
	s_cbranch_execz .LBB3_1082
; %bb.1077:
	v_mov_b32_e32 v2, 0
	s_mov_b32 s6, exec_lo
	global_load_dwordx2 v[8:9], v2, s[38:39] offset:24 glc dlc
	s_waitcnt vmcnt(0)
	buffer_gl1_inv
	buffer_gl0_inv
	s_clause 0x1
	global_load_dwordx2 v[6:7], v2, s[38:39] offset:40
	global_load_dwordx2 v[10:11], v2, s[38:39]
	s_waitcnt vmcnt(1)
	v_and_b32_e32 v3, v7, v9
	v_and_b32_e32 v6, v6, v8
	v_mul_lo_u32 v3, v3, 24
	v_mul_hi_u32 v7, v6, 24
	v_mul_lo_u32 v6, v6, 24
	v_add_nc_u32_e32 v3, v7, v3
	s_waitcnt vmcnt(0)
	v_add_co_u32 v6, vcc_lo, v10, v6
	v_add_co_ci_u32_e32 v7, vcc_lo, v11, v3, vcc_lo
	global_load_dwordx2 v[6:7], v[6:7], off glc dlc
	s_waitcnt vmcnt(0)
	global_atomic_cmpswap_x2 v[10:11], v2, v[6:9], s[38:39] offset:24 glc
	s_waitcnt vmcnt(0)
	buffer_gl1_inv
	buffer_gl0_inv
	v_cmpx_ne_u64_e64 v[10:11], v[8:9]
	s_cbranch_execz .LBB3_1081
; %bb.1078:
	s_mov_b32 s7, 0
	.p2align	6
.LBB3_1079:                             ; =>This Inner Loop Header: Depth=1
	s_sleep 1
	s_clause 0x1
	global_load_dwordx2 v[6:7], v2, s[38:39] offset:40
	global_load_dwordx2 v[12:13], v2, s[38:39]
	v_mov_b32_e32 v8, v10
	v_mov_b32_e32 v9, v11
	s_waitcnt vmcnt(1)
	v_and_b32_e32 v3, v6, v8
	v_and_b32_e32 v6, v7, v9
	s_waitcnt vmcnt(0)
	v_mad_u64_u32 v[10:11], null, v3, 24, v[12:13]
	v_mov_b32_e32 v3, v11
	v_mad_u64_u32 v[6:7], null, v6, 24, v[3:4]
	v_mov_b32_e32 v11, v6
	global_load_dwordx2 v[6:7], v[10:11], off glc dlc
	s_waitcnt vmcnt(0)
	global_atomic_cmpswap_x2 v[10:11], v2, v[6:9], s[38:39] offset:24 glc
	s_waitcnt vmcnt(0)
	buffer_gl1_inv
	buffer_gl0_inv
	v_cmp_eq_u64_e32 vcc_lo, v[10:11], v[8:9]
	s_or_b32 s7, vcc_lo, s7
	s_andn2_b32 exec_lo, exec_lo, s7
	s_cbranch_execnz .LBB3_1079
; %bb.1080:
	s_or_b32 exec_lo, exec_lo, s7
.LBB3_1081:
	s_or_b32 exec_lo, exec_lo, s6
.LBB3_1082:
	s_or_b32 exec_lo, exec_lo, s5
	v_mov_b32_e32 v2, 0
	v_readfirstlane_b32 s6, v10
	v_readfirstlane_b32 s7, v11
	s_mov_b32 s5, exec_lo
	s_clause 0x1
	global_load_dwordx2 v[12:13], v2, s[38:39] offset:40
	global_load_dwordx4 v[6:9], v2, s[38:39]
	s_waitcnt vmcnt(1)
	v_readfirstlane_b32 s10, v12
	v_readfirstlane_b32 s11, v13
	s_and_b64 s[10:11], s[6:7], s[10:11]
	s_mul_i32 s16, s11, 24
	s_mul_hi_u32 s17, s10, 24
	s_mul_i32 s18, s10, 24
	s_add_i32 s17, s17, s16
	s_waitcnt vmcnt(0)
	v_add_co_u32 v10, vcc_lo, v6, s18
	v_add_co_ci_u32_e32 v11, vcc_lo, s17, v7, vcc_lo
	s_and_saveexec_b32 s16, s4
	s_cbranch_execz .LBB3_1084
; %bb.1083:
	v_mov_b32_e32 v12, s5
	v_mov_b32_e32 v13, v2
	v_mov_b32_e32 v14, 2
	v_mov_b32_e32 v15, 1
	global_store_dwordx4 v[10:11], v[12:15], off offset:8
.LBB3_1084:
	s_or_b32 exec_lo, exec_lo, s16
	s_lshl_b64 s[10:11], s[10:11], 12
	s_mov_b32 s16, 0
	v_add_co_u32 v8, vcc_lo, v8, s10
	v_add_co_ci_u32_e32 v9, vcc_lo, s11, v9, vcc_lo
	s_mov_b32 s17, s16
	v_readfirstlane_b32 s10, v8
	v_add_co_u32 v8, vcc_lo, v8, v50
	s_mov_b32 s18, s16
	s_mov_b32 s19, s16
	v_and_or_b32 v0, 0xffffff1f, v0, 32
	v_mov_b32_e32 v3, v2
	v_readfirstlane_b32 s11, v9
	v_mov_b32_e32 v12, s16
	v_add_co_ci_u32_e32 v9, vcc_lo, 0, v9, vcc_lo
	v_mov_b32_e32 v13, s17
	v_mov_b32_e32 v14, s18
	;; [unrolled: 1-line block ×3, first 2 shown]
	global_store_dwordx4 v50, v[0:3], s[10:11]
	global_store_dwordx4 v50, v[12:15], s[10:11] offset:16
	global_store_dwordx4 v50, v[12:15], s[10:11] offset:32
	global_store_dwordx4 v50, v[12:15], s[10:11] offset:48
	s_and_saveexec_b32 s5, s4
	s_cbranch_execz .LBB3_1092
; %bb.1085:
	v_mov_b32_e32 v12, 0
	v_mov_b32_e32 v13, s6
	;; [unrolled: 1-line block ×3, first 2 shown]
	s_clause 0x1
	global_load_dwordx2 v[15:16], v12, s[38:39] offset:32 glc dlc
	global_load_dwordx2 v[0:1], v12, s[38:39] offset:40
	s_waitcnt vmcnt(0)
	v_readfirstlane_b32 s10, v0
	v_readfirstlane_b32 s11, v1
	s_and_b64 s[10:11], s[10:11], s[6:7]
	s_mul_i32 s11, s11, 24
	s_mul_hi_u32 s16, s10, 24
	s_mul_i32 s10, s10, 24
	s_add_i32 s16, s16, s11
	v_add_co_u32 v6, vcc_lo, v6, s10
	v_add_co_ci_u32_e32 v7, vcc_lo, s16, v7, vcc_lo
	s_mov_b32 s10, exec_lo
	global_store_dwordx2 v[6:7], v[15:16], off
	s_waitcnt_vscnt null, 0x0
	global_atomic_cmpswap_x2 v[2:3], v12, v[13:16], s[38:39] offset:32 glc
	s_waitcnt vmcnt(0)
	v_cmpx_ne_u64_e64 v[2:3], v[15:16]
	s_cbranch_execz .LBB3_1088
; %bb.1086:
	s_mov_b32 s11, 0
.LBB3_1087:                             ; =>This Inner Loop Header: Depth=1
	v_mov_b32_e32 v0, s6
	v_mov_b32_e32 v1, s7
	s_sleep 1
	global_store_dwordx2 v[6:7], v[2:3], off
	s_waitcnt_vscnt null, 0x0
	global_atomic_cmpswap_x2 v[0:1], v12, v[0:3], s[38:39] offset:32 glc
	s_waitcnt vmcnt(0)
	v_cmp_eq_u64_e32 vcc_lo, v[0:1], v[2:3]
	v_mov_b32_e32 v3, v1
	v_mov_b32_e32 v2, v0
	s_or_b32 s11, vcc_lo, s11
	s_andn2_b32 exec_lo, exec_lo, s11
	s_cbranch_execnz .LBB3_1087
.LBB3_1088:
	s_or_b32 exec_lo, exec_lo, s10
	v_mov_b32_e32 v3, 0
	s_mov_b32 s11, exec_lo
	s_mov_b32 s10, exec_lo
	v_mbcnt_lo_u32_b32 v2, s11, 0
	global_load_dwordx2 v[0:1], v3, s[38:39] offset:16
	v_cmpx_eq_u32_e32 0, v2
	s_cbranch_execz .LBB3_1090
; %bb.1089:
	s_bcnt1_i32_b32 s11, s11
	v_mov_b32_e32 v2, s11
	s_waitcnt vmcnt(0)
	global_atomic_add_x2 v[0:1], v[2:3], off offset:8
.LBB3_1090:
	s_or_b32 exec_lo, exec_lo, s10
	s_waitcnt vmcnt(0)
	global_load_dwordx2 v[2:3], v[0:1], off offset:16
	s_waitcnt vmcnt(0)
	v_cmp_eq_u64_e32 vcc_lo, 0, v[2:3]
	s_cbranch_vccnz .LBB3_1092
; %bb.1091:
	global_load_dword v0, v[0:1], off offset:24
	v_mov_b32_e32 v1, 0
	s_waitcnt vmcnt(0)
	v_and_b32_e32 v6, 0x7fffff, v0
	s_waitcnt_vscnt null, 0x0
	global_store_dwordx2 v[2:3], v[0:1], off
	v_readfirstlane_b32 m0, v6
	s_sendmsg sendmsg(MSG_INTERRUPT)
.LBB3_1092:
	s_or_b32 exec_lo, exec_lo, s5
	s_branch .LBB3_1096
	.p2align	6
.LBB3_1093:                             ;   in Loop: Header=BB3_1096 Depth=1
	s_or_b32 exec_lo, exec_lo, s5
	v_readfirstlane_b32 s5, v0
	s_cmp_eq_u32 s5, 0
	s_cbranch_scc1 .LBB3_1095
; %bb.1094:                             ;   in Loop: Header=BB3_1096 Depth=1
	s_sleep 1
	s_cbranch_execnz .LBB3_1096
	s_branch .LBB3_1098
	.p2align	6
.LBB3_1095:
	s_branch .LBB3_1098
.LBB3_1096:                             ; =>This Inner Loop Header: Depth=1
	v_mov_b32_e32 v0, 1
	s_and_saveexec_b32 s5, s4
	s_cbranch_execz .LBB3_1093
; %bb.1097:                             ;   in Loop: Header=BB3_1096 Depth=1
	global_load_dword v0, v[10:11], off offset:20 glc dlc
	s_waitcnt vmcnt(0)
	buffer_gl1_inv
	buffer_gl0_inv
	v_and_b32_e32 v0, 1, v0
	s_branch .LBB3_1093
.LBB3_1098:
	global_load_dwordx2 v[6:7], v[8:9], off
	s_and_saveexec_b32 s5, s4
	s_cbranch_execz .LBB3_1102
; %bb.1099:
	v_mov_b32_e32 v10, 0
	s_clause 0x2
	global_load_dwordx2 v[2:3], v10, s[38:39] offset:40
	global_load_dwordx2 v[11:12], v10, s[38:39] offset:24 glc dlc
	global_load_dwordx2 v[8:9], v10, s[38:39]
	s_waitcnt vmcnt(2)
	v_add_co_u32 v13, vcc_lo, v2, 1
	v_add_co_ci_u32_e32 v14, vcc_lo, 0, v3, vcc_lo
	v_add_co_u32 v0, vcc_lo, v13, s6
	v_add_co_ci_u32_e32 v1, vcc_lo, s7, v14, vcc_lo
	v_cmp_eq_u64_e32 vcc_lo, 0, v[0:1]
	v_cndmask_b32_e32 v1, v1, v14, vcc_lo
	v_cndmask_b32_e32 v0, v0, v13, vcc_lo
	v_and_b32_e32 v3, v1, v3
	v_and_b32_e32 v2, v0, v2
	v_mul_lo_u32 v3, v3, 24
	v_mul_hi_u32 v13, v2, 24
	v_mul_lo_u32 v2, v2, 24
	v_add_nc_u32_e32 v3, v13, v3
	s_waitcnt vmcnt(0)
	v_add_co_u32 v8, vcc_lo, v8, v2
	v_mov_b32_e32 v2, v11
	v_add_co_ci_u32_e32 v9, vcc_lo, v9, v3, vcc_lo
	v_mov_b32_e32 v3, v12
	global_store_dwordx2 v[8:9], v[11:12], off
	s_waitcnt_vscnt null, 0x0
	global_atomic_cmpswap_x2 v[2:3], v10, v[0:3], s[38:39] offset:24 glc
	s_waitcnt vmcnt(0)
	v_cmp_ne_u64_e32 vcc_lo, v[2:3], v[11:12]
	s_and_b32 exec_lo, exec_lo, vcc_lo
	s_cbranch_execz .LBB3_1102
; %bb.1100:
	s_mov_b32 s4, 0
.LBB3_1101:                             ; =>This Inner Loop Header: Depth=1
	s_sleep 1
	global_store_dwordx2 v[8:9], v[2:3], off
	s_waitcnt_vscnt null, 0x0
	global_atomic_cmpswap_x2 v[11:12], v10, v[0:3], s[38:39] offset:24 glc
	s_waitcnt vmcnt(0)
	v_cmp_eq_u64_e32 vcc_lo, v[11:12], v[2:3]
	v_mov_b32_e32 v2, v11
	v_mov_b32_e32 v3, v12
	s_or_b32 s4, vcc_lo, s4
	s_andn2_b32 exec_lo, exec_lo, s4
	s_cbranch_execnz .LBB3_1101
.LBB3_1102:
	s_or_b32 exec_lo, exec_lo, s5
.LBB3_1103:
	v_readfirstlane_b32 s4, v51
	v_mov_b32_e32 v10, 0
	v_mov_b32_e32 v11, 0
	v_cmp_eq_u32_e64 s4, s4, v51
	s_and_saveexec_b32 s5, s4
	s_cbranch_execz .LBB3_1109
; %bb.1104:
	s_waitcnt vmcnt(0)
	v_mov_b32_e32 v0, 0
	s_mov_b32 s6, exec_lo
	global_load_dwordx2 v[12:13], v0, s[38:39] offset:24 glc dlc
	s_waitcnt vmcnt(0)
	buffer_gl1_inv
	buffer_gl0_inv
	s_clause 0x1
	global_load_dwordx2 v[1:2], v0, s[38:39] offset:40
	global_load_dwordx2 v[8:9], v0, s[38:39]
	s_waitcnt vmcnt(1)
	v_and_b32_e32 v2, v2, v13
	v_and_b32_e32 v1, v1, v12
	v_mul_lo_u32 v2, v2, 24
	v_mul_hi_u32 v3, v1, 24
	v_mul_lo_u32 v1, v1, 24
	v_add_nc_u32_e32 v2, v3, v2
	s_waitcnt vmcnt(0)
	v_add_co_u32 v1, vcc_lo, v8, v1
	v_add_co_ci_u32_e32 v2, vcc_lo, v9, v2, vcc_lo
	global_load_dwordx2 v[10:11], v[1:2], off glc dlc
	s_waitcnt vmcnt(0)
	global_atomic_cmpswap_x2 v[10:11], v0, v[10:13], s[38:39] offset:24 glc
	s_waitcnt vmcnt(0)
	buffer_gl1_inv
	buffer_gl0_inv
	v_cmpx_ne_u64_e64 v[10:11], v[12:13]
	s_cbranch_execz .LBB3_1108
; %bb.1105:
	s_mov_b32 s7, 0
	.p2align	6
.LBB3_1106:                             ; =>This Inner Loop Header: Depth=1
	s_sleep 1
	s_clause 0x1
	global_load_dwordx2 v[1:2], v0, s[38:39] offset:40
	global_load_dwordx2 v[8:9], v0, s[38:39]
	v_mov_b32_e32 v13, v11
	v_mov_b32_e32 v12, v10
	s_waitcnt vmcnt(1)
	v_and_b32_e32 v1, v1, v12
	v_and_b32_e32 v2, v2, v13
	s_waitcnt vmcnt(0)
	v_mad_u64_u32 v[8:9], null, v1, 24, v[8:9]
	v_mov_b32_e32 v1, v9
	v_mad_u64_u32 v[1:2], null, v2, 24, v[1:2]
	v_mov_b32_e32 v9, v1
	global_load_dwordx2 v[10:11], v[8:9], off glc dlc
	s_waitcnt vmcnt(0)
	global_atomic_cmpswap_x2 v[10:11], v0, v[10:13], s[38:39] offset:24 glc
	s_waitcnt vmcnt(0)
	buffer_gl1_inv
	buffer_gl0_inv
	v_cmp_eq_u64_e32 vcc_lo, v[10:11], v[12:13]
	s_or_b32 s7, vcc_lo, s7
	s_andn2_b32 exec_lo, exec_lo, s7
	s_cbranch_execnz .LBB3_1106
; %bb.1107:
	s_or_b32 exec_lo, exec_lo, s7
.LBB3_1108:
	s_or_b32 exec_lo, exec_lo, s6
.LBB3_1109:
	s_or_b32 exec_lo, exec_lo, s5
	s_waitcnt vmcnt(0)
	v_mov_b32_e32 v9, 0
	v_readfirstlane_b32 s6, v10
	v_readfirstlane_b32 s7, v11
	s_mov_b32 s5, exec_lo
	s_clause 0x1
	global_load_dwordx2 v[12:13], v9, s[38:39] offset:40
	global_load_dwordx4 v[0:3], v9, s[38:39]
	s_waitcnt vmcnt(1)
	v_readfirstlane_b32 s10, v12
	v_readfirstlane_b32 s11, v13
	s_and_b64 s[10:11], s[6:7], s[10:11]
	s_mul_i32 s16, s11, 24
	s_mul_hi_u32 s17, s10, 24
	s_mul_i32 s18, s10, 24
	s_add_i32 s17, s17, s16
	s_waitcnt vmcnt(0)
	v_add_co_u32 v10, vcc_lo, v0, s18
	v_add_co_ci_u32_e32 v11, vcc_lo, s17, v1, vcc_lo
	s_and_saveexec_b32 s16, s4
	s_cbranch_execz .LBB3_1111
; %bb.1110:
	v_mov_b32_e32 v8, s5
	v_mov_b32_e32 v13, v9
	;; [unrolled: 1-line block ×5, first 2 shown]
	global_store_dwordx4 v[10:11], v[12:15], off offset:8
.LBB3_1111:
	s_or_b32 exec_lo, exec_lo, s16
	s_lshl_b64 s[10:11], s[10:11], 12
	s_mov_b32 s16, 0
	v_add_co_u32 v2, vcc_lo, v2, s10
	v_add_co_ci_u32_e32 v3, vcc_lo, s11, v3, vcc_lo
	s_mov_b32 s17, s16
	s_mov_b32 s18, s16
	s_mov_b32 s19, s16
	v_and_or_b32 v6, 0xffffff1d, v6, 34
	v_mov_b32_e32 v8, 58
	v_readfirstlane_b32 s10, v2
	v_readfirstlane_b32 s11, v3
	v_mov_b32_e32 v12, s16
	v_mov_b32_e32 v13, s17
	;; [unrolled: 1-line block ×4, first 2 shown]
	global_store_dwordx4 v50, v[6:9], s[10:11]
	global_store_dwordx4 v50, v[12:15], s[10:11] offset:16
	global_store_dwordx4 v50, v[12:15], s[10:11] offset:32
	;; [unrolled: 1-line block ×3, first 2 shown]
	s_and_saveexec_b32 s5, s4
	s_cbranch_execz .LBB3_1119
; %bb.1112:
	v_mov_b32_e32 v8, 0
	v_mov_b32_e32 v12, s6
	;; [unrolled: 1-line block ×3, first 2 shown]
	s_clause 0x1
	global_load_dwordx2 v[14:15], v8, s[38:39] offset:32 glc dlc
	global_load_dwordx2 v[2:3], v8, s[38:39] offset:40
	s_waitcnt vmcnt(0)
	v_readfirstlane_b32 s10, v2
	v_readfirstlane_b32 s11, v3
	s_and_b64 s[10:11], s[10:11], s[6:7]
	s_mul_i32 s11, s11, 24
	s_mul_hi_u32 s16, s10, 24
	s_mul_i32 s10, s10, 24
	s_add_i32 s16, s16, s11
	v_add_co_u32 v6, vcc_lo, v0, s10
	v_add_co_ci_u32_e32 v7, vcc_lo, s16, v1, vcc_lo
	s_mov_b32 s10, exec_lo
	global_store_dwordx2 v[6:7], v[14:15], off
	s_waitcnt_vscnt null, 0x0
	global_atomic_cmpswap_x2 v[2:3], v8, v[12:15], s[38:39] offset:32 glc
	s_waitcnt vmcnt(0)
	v_cmpx_ne_u64_e64 v[2:3], v[14:15]
	s_cbranch_execz .LBB3_1115
; %bb.1113:
	s_mov_b32 s11, 0
.LBB3_1114:                             ; =>This Inner Loop Header: Depth=1
	v_mov_b32_e32 v0, s6
	v_mov_b32_e32 v1, s7
	s_sleep 1
	global_store_dwordx2 v[6:7], v[2:3], off
	s_waitcnt_vscnt null, 0x0
	global_atomic_cmpswap_x2 v[0:1], v8, v[0:3], s[38:39] offset:32 glc
	s_waitcnt vmcnt(0)
	v_cmp_eq_u64_e32 vcc_lo, v[0:1], v[2:3]
	v_mov_b32_e32 v3, v1
	v_mov_b32_e32 v2, v0
	s_or_b32 s11, vcc_lo, s11
	s_andn2_b32 exec_lo, exec_lo, s11
	s_cbranch_execnz .LBB3_1114
.LBB3_1115:
	s_or_b32 exec_lo, exec_lo, s10
	v_mov_b32_e32 v3, 0
	s_mov_b32 s11, exec_lo
	s_mov_b32 s10, exec_lo
	v_mbcnt_lo_u32_b32 v2, s11, 0
	global_load_dwordx2 v[0:1], v3, s[38:39] offset:16
	v_cmpx_eq_u32_e32 0, v2
	s_cbranch_execz .LBB3_1117
; %bb.1116:
	s_bcnt1_i32_b32 s11, s11
	v_mov_b32_e32 v2, s11
	s_waitcnt vmcnt(0)
	global_atomic_add_x2 v[0:1], v[2:3], off offset:8
.LBB3_1117:
	s_or_b32 exec_lo, exec_lo, s10
	s_waitcnt vmcnt(0)
	global_load_dwordx2 v[2:3], v[0:1], off offset:16
	s_waitcnt vmcnt(0)
	v_cmp_eq_u64_e32 vcc_lo, 0, v[2:3]
	s_cbranch_vccnz .LBB3_1119
; %bb.1118:
	global_load_dword v0, v[0:1], off offset:24
	v_mov_b32_e32 v1, 0
	s_waitcnt vmcnt(0)
	v_and_b32_e32 v6, 0x7fffff, v0
	s_waitcnt_vscnt null, 0x0
	global_store_dwordx2 v[2:3], v[0:1], off
	v_readfirstlane_b32 m0, v6
	s_sendmsg sendmsg(MSG_INTERRUPT)
.LBB3_1119:
	s_or_b32 exec_lo, exec_lo, s5
	s_branch .LBB3_1123
	.p2align	6
.LBB3_1120:                             ;   in Loop: Header=BB3_1123 Depth=1
	s_or_b32 exec_lo, exec_lo, s5
	v_readfirstlane_b32 s5, v0
	s_cmp_eq_u32 s5, 0
	s_cbranch_scc1 .LBB3_1122
; %bb.1121:                             ;   in Loop: Header=BB3_1123 Depth=1
	s_sleep 1
	s_cbranch_execnz .LBB3_1123
	s_branch .LBB3_1125
	.p2align	6
.LBB3_1122:
	s_branch .LBB3_1125
.LBB3_1123:                             ; =>This Inner Loop Header: Depth=1
	v_mov_b32_e32 v0, 1
	s_and_saveexec_b32 s5, s4
	s_cbranch_execz .LBB3_1120
; %bb.1124:                             ;   in Loop: Header=BB3_1123 Depth=1
	global_load_dword v0, v[10:11], off offset:20 glc dlc
	s_waitcnt vmcnt(0)
	buffer_gl1_inv
	buffer_gl0_inv
	v_and_b32_e32 v0, 1, v0
	s_branch .LBB3_1120
.LBB3_1125:
	s_and_saveexec_b32 s5, s4
	s_cbranch_execz .LBB3_1129
; %bb.1126:
	v_mov_b32_e32 v8, 0
	s_clause 0x2
	global_load_dwordx2 v[2:3], v8, s[38:39] offset:40
	global_load_dwordx2 v[9:10], v8, s[38:39] offset:24 glc dlc
	global_load_dwordx2 v[6:7], v8, s[38:39]
	s_waitcnt vmcnt(2)
	v_add_co_u32 v11, vcc_lo, v2, 1
	v_add_co_ci_u32_e32 v12, vcc_lo, 0, v3, vcc_lo
	v_add_co_u32 v0, vcc_lo, v11, s6
	v_add_co_ci_u32_e32 v1, vcc_lo, s7, v12, vcc_lo
	v_cmp_eq_u64_e32 vcc_lo, 0, v[0:1]
	v_cndmask_b32_e32 v1, v1, v12, vcc_lo
	v_cndmask_b32_e32 v0, v0, v11, vcc_lo
	v_and_b32_e32 v3, v1, v3
	v_and_b32_e32 v2, v0, v2
	v_mul_lo_u32 v3, v3, 24
	v_mul_hi_u32 v11, v2, 24
	v_mul_lo_u32 v2, v2, 24
	v_add_nc_u32_e32 v3, v11, v3
	s_waitcnt vmcnt(0)
	v_add_co_u32 v6, vcc_lo, v6, v2
	v_mov_b32_e32 v2, v9
	v_add_co_ci_u32_e32 v7, vcc_lo, v7, v3, vcc_lo
	v_mov_b32_e32 v3, v10
	global_store_dwordx2 v[6:7], v[9:10], off
	s_waitcnt_vscnt null, 0x0
	global_atomic_cmpswap_x2 v[2:3], v8, v[0:3], s[38:39] offset:24 glc
	s_waitcnt vmcnt(0)
	v_cmp_ne_u64_e32 vcc_lo, v[2:3], v[9:10]
	s_and_b32 exec_lo, exec_lo, vcc_lo
	s_cbranch_execz .LBB3_1129
; %bb.1127:
	s_mov_b32 s4, 0
.LBB3_1128:                             ; =>This Inner Loop Header: Depth=1
	s_sleep 1
	global_store_dwordx2 v[6:7], v[2:3], off
	s_waitcnt_vscnt null, 0x0
	global_atomic_cmpswap_x2 v[9:10], v8, v[0:3], s[38:39] offset:24 glc
	s_waitcnt vmcnt(0)
	v_cmp_eq_u64_e32 vcc_lo, v[9:10], v[2:3]
	v_mov_b32_e32 v2, v9
	v_mov_b32_e32 v3, v10
	s_or_b32 s4, vcc_lo, s4
	s_andn2_b32 exec_lo, exec_lo, s4
	s_cbranch_execnz .LBB3_1128
.LBB3_1129:
	s_or_b32 exec_lo, exec_lo, s5
	v_readfirstlane_b32 s4, v51
	v_mov_b32_e32 v8, 0
	v_mov_b32_e32 v9, 0
	v_cmp_eq_u32_e64 s4, s4, v51
	s_and_saveexec_b32 s5, s4
	s_cbranch_execz .LBB3_1135
; %bb.1130:
	v_mov_b32_e32 v0, 0
	s_mov_b32 s6, exec_lo
	global_load_dwordx2 v[10:11], v0, s[38:39] offset:24 glc dlc
	s_waitcnt vmcnt(0)
	buffer_gl1_inv
	buffer_gl0_inv
	s_clause 0x1
	global_load_dwordx2 v[1:2], v0, s[38:39] offset:40
	global_load_dwordx2 v[6:7], v0, s[38:39]
	s_waitcnt vmcnt(1)
	v_and_b32_e32 v2, v2, v11
	v_and_b32_e32 v1, v1, v10
	v_mul_lo_u32 v2, v2, 24
	v_mul_hi_u32 v3, v1, 24
	v_mul_lo_u32 v1, v1, 24
	v_add_nc_u32_e32 v2, v3, v2
	s_waitcnt vmcnt(0)
	v_add_co_u32 v1, vcc_lo, v6, v1
	v_add_co_ci_u32_e32 v2, vcc_lo, v7, v2, vcc_lo
	global_load_dwordx2 v[8:9], v[1:2], off glc dlc
	s_waitcnt vmcnt(0)
	global_atomic_cmpswap_x2 v[8:9], v0, v[8:11], s[38:39] offset:24 glc
	s_waitcnt vmcnt(0)
	buffer_gl1_inv
	buffer_gl0_inv
	v_cmpx_ne_u64_e64 v[8:9], v[10:11]
	s_cbranch_execz .LBB3_1134
; %bb.1131:
	s_mov_b32 s7, 0
	.p2align	6
.LBB3_1132:                             ; =>This Inner Loop Header: Depth=1
	s_sleep 1
	s_clause 0x1
	global_load_dwordx2 v[1:2], v0, s[38:39] offset:40
	global_load_dwordx2 v[6:7], v0, s[38:39]
	v_mov_b32_e32 v11, v9
	v_mov_b32_e32 v10, v8
	s_waitcnt vmcnt(1)
	v_and_b32_e32 v1, v1, v10
	v_and_b32_e32 v2, v2, v11
	s_waitcnt vmcnt(0)
	v_mad_u64_u32 v[6:7], null, v1, 24, v[6:7]
	v_mov_b32_e32 v1, v7
	v_mad_u64_u32 v[1:2], null, v2, 24, v[1:2]
	v_mov_b32_e32 v7, v1
	global_load_dwordx2 v[8:9], v[6:7], off glc dlc
	s_waitcnt vmcnt(0)
	global_atomic_cmpswap_x2 v[8:9], v0, v[8:11], s[38:39] offset:24 glc
	s_waitcnt vmcnt(0)
	buffer_gl1_inv
	buffer_gl0_inv
	v_cmp_eq_u64_e32 vcc_lo, v[8:9], v[10:11]
	s_or_b32 s7, vcc_lo, s7
	s_andn2_b32 exec_lo, exec_lo, s7
	s_cbranch_execnz .LBB3_1132
; %bb.1133:
	s_or_b32 exec_lo, exec_lo, s7
.LBB3_1134:
	s_or_b32 exec_lo, exec_lo, s6
.LBB3_1135:
	s_or_b32 exec_lo, exec_lo, s5
	v_mov_b32_e32 v7, 0
	v_readfirstlane_b32 s6, v8
	v_readfirstlane_b32 s7, v9
	s_mov_b32 s5, exec_lo
	s_clause 0x1
	global_load_dwordx2 v[10:11], v7, s[38:39] offset:40
	global_load_dwordx4 v[0:3], v7, s[38:39]
	s_waitcnt vmcnt(1)
	v_readfirstlane_b32 s10, v10
	v_readfirstlane_b32 s11, v11
	s_and_b64 s[10:11], s[6:7], s[10:11]
	s_mul_i32 s16, s11, 24
	s_mul_hi_u32 s17, s10, 24
	s_mul_i32 s18, s10, 24
	s_add_i32 s17, s17, s16
	s_waitcnt vmcnt(0)
	v_add_co_u32 v10, vcc_lo, v0, s18
	v_add_co_ci_u32_e32 v11, vcc_lo, s17, v1, vcc_lo
	s_and_saveexec_b32 s16, s4
	s_cbranch_execz .LBB3_1137
; %bb.1136:
	v_mov_b32_e32 v6, s5
	v_mov_b32_e32 v8, 2
	v_mov_b32_e32 v9, 1
	global_store_dwordx4 v[10:11], v[6:9], off offset:8
.LBB3_1137:
	s_or_b32 exec_lo, exec_lo, s16
	s_lshl_b64 s[10:11], s[10:11], 12
	s_mov_b32 s16, 0
	v_add_co_u32 v2, vcc_lo, v2, s10
	v_add_co_ci_u32_e32 v3, vcc_lo, s11, v3, vcc_lo
	s_mov_b32 s17, s16
	v_add_co_u32 v12, vcc_lo, v2, v50
	s_mov_b32 s18, s16
	s_mov_b32 s19, s16
	v_mov_b32_e32 v6, 33
	v_mov_b32_e32 v8, v7
	;; [unrolled: 1-line block ×3, first 2 shown]
	v_readfirstlane_b32 s10, v2
	v_readfirstlane_b32 s11, v3
	v_mov_b32_e32 v14, s16
	v_add_co_ci_u32_e32 v13, vcc_lo, 0, v3, vcc_lo
	v_mov_b32_e32 v15, s17
	v_mov_b32_e32 v16, s18
	;; [unrolled: 1-line block ×3, first 2 shown]
	global_store_dwordx4 v50, v[6:9], s[10:11]
	global_store_dwordx4 v50, v[14:17], s[10:11] offset:16
	global_store_dwordx4 v50, v[14:17], s[10:11] offset:32
	;; [unrolled: 1-line block ×3, first 2 shown]
	s_and_saveexec_b32 s5, s4
	s_cbranch_execz .LBB3_1145
; %bb.1138:
	v_mov_b32_e32 v8, 0
	v_mov_b32_e32 v14, s6
	;; [unrolled: 1-line block ×3, first 2 shown]
	s_clause 0x1
	global_load_dwordx2 v[16:17], v8, s[38:39] offset:32 glc dlc
	global_load_dwordx2 v[2:3], v8, s[38:39] offset:40
	s_waitcnt vmcnt(0)
	v_readfirstlane_b32 s10, v2
	v_readfirstlane_b32 s11, v3
	s_and_b64 s[10:11], s[10:11], s[6:7]
	s_mul_i32 s11, s11, 24
	s_mul_hi_u32 s16, s10, 24
	s_mul_i32 s10, s10, 24
	s_add_i32 s16, s16, s11
	v_add_co_u32 v6, vcc_lo, v0, s10
	v_add_co_ci_u32_e32 v7, vcc_lo, s16, v1, vcc_lo
	s_mov_b32 s10, exec_lo
	global_store_dwordx2 v[6:7], v[16:17], off
	s_waitcnt_vscnt null, 0x0
	global_atomic_cmpswap_x2 v[2:3], v8, v[14:17], s[38:39] offset:32 glc
	s_waitcnt vmcnt(0)
	v_cmpx_ne_u64_e64 v[2:3], v[16:17]
	s_cbranch_execz .LBB3_1141
; %bb.1139:
	s_mov_b32 s11, 0
.LBB3_1140:                             ; =>This Inner Loop Header: Depth=1
	v_mov_b32_e32 v0, s6
	v_mov_b32_e32 v1, s7
	s_sleep 1
	global_store_dwordx2 v[6:7], v[2:3], off
	s_waitcnt_vscnt null, 0x0
	global_atomic_cmpswap_x2 v[0:1], v8, v[0:3], s[38:39] offset:32 glc
	s_waitcnt vmcnt(0)
	v_cmp_eq_u64_e32 vcc_lo, v[0:1], v[2:3]
	v_mov_b32_e32 v3, v1
	v_mov_b32_e32 v2, v0
	s_or_b32 s11, vcc_lo, s11
	s_andn2_b32 exec_lo, exec_lo, s11
	s_cbranch_execnz .LBB3_1140
.LBB3_1141:
	s_or_b32 exec_lo, exec_lo, s10
	v_mov_b32_e32 v3, 0
	s_mov_b32 s11, exec_lo
	s_mov_b32 s10, exec_lo
	v_mbcnt_lo_u32_b32 v2, s11, 0
	global_load_dwordx2 v[0:1], v3, s[38:39] offset:16
	v_cmpx_eq_u32_e32 0, v2
	s_cbranch_execz .LBB3_1143
; %bb.1142:
	s_bcnt1_i32_b32 s11, s11
	v_mov_b32_e32 v2, s11
	s_waitcnt vmcnt(0)
	global_atomic_add_x2 v[0:1], v[2:3], off offset:8
.LBB3_1143:
	s_or_b32 exec_lo, exec_lo, s10
	s_waitcnt vmcnt(0)
	global_load_dwordx2 v[2:3], v[0:1], off offset:16
	s_waitcnt vmcnt(0)
	v_cmp_eq_u64_e32 vcc_lo, 0, v[2:3]
	s_cbranch_vccnz .LBB3_1145
; %bb.1144:
	global_load_dword v0, v[0:1], off offset:24
	v_mov_b32_e32 v1, 0
	s_waitcnt vmcnt(0)
	v_and_b32_e32 v6, 0x7fffff, v0
	s_waitcnt_vscnt null, 0x0
	global_store_dwordx2 v[2:3], v[0:1], off
	v_readfirstlane_b32 m0, v6
	s_sendmsg sendmsg(MSG_INTERRUPT)
.LBB3_1145:
	s_or_b32 exec_lo, exec_lo, s5
	s_branch .LBB3_1149
	.p2align	6
.LBB3_1146:                             ;   in Loop: Header=BB3_1149 Depth=1
	s_or_b32 exec_lo, exec_lo, s5
	v_readfirstlane_b32 s5, v0
	s_cmp_eq_u32 s5, 0
	s_cbranch_scc1 .LBB3_1148
; %bb.1147:                             ;   in Loop: Header=BB3_1149 Depth=1
	s_sleep 1
	s_cbranch_execnz .LBB3_1149
	s_branch .LBB3_1151
	.p2align	6
.LBB3_1148:
	s_branch .LBB3_1151
.LBB3_1149:                             ; =>This Inner Loop Header: Depth=1
	v_mov_b32_e32 v0, 1
	s_and_saveexec_b32 s5, s4
	s_cbranch_execz .LBB3_1146
; %bb.1150:                             ;   in Loop: Header=BB3_1149 Depth=1
	global_load_dword v0, v[10:11], off offset:20 glc dlc
	s_waitcnt vmcnt(0)
	buffer_gl1_inv
	buffer_gl0_inv
	v_and_b32_e32 v0, 1, v0
	s_branch .LBB3_1146
.LBB3_1151:
	global_load_dwordx2 v[0:1], v[12:13], off
	s_and_saveexec_b32 s5, s4
	s_cbranch_execz .LBB3_1155
; %bb.1152:
	v_mov_b32_e32 v10, 0
	s_clause 0x2
	global_load_dwordx2 v[2:3], v10, s[38:39] offset:40
	global_load_dwordx2 v[11:12], v10, s[38:39] offset:24 glc dlc
	global_load_dwordx2 v[8:9], v10, s[38:39]
	s_waitcnt vmcnt(2)
	v_add_co_u32 v13, vcc_lo, v2, 1
	v_add_co_ci_u32_e32 v14, vcc_lo, 0, v3, vcc_lo
	v_add_co_u32 v6, vcc_lo, v13, s6
	v_add_co_ci_u32_e32 v7, vcc_lo, s7, v14, vcc_lo
	v_cmp_eq_u64_e32 vcc_lo, 0, v[6:7]
	v_cndmask_b32_e32 v7, v7, v14, vcc_lo
	v_cndmask_b32_e32 v6, v6, v13, vcc_lo
	v_and_b32_e32 v3, v7, v3
	v_and_b32_e32 v2, v6, v2
	v_mul_lo_u32 v3, v3, 24
	v_mul_hi_u32 v13, v2, 24
	v_mul_lo_u32 v2, v2, 24
	v_add_nc_u32_e32 v3, v13, v3
	s_waitcnt vmcnt(0)
	v_add_co_u32 v2, vcc_lo, v8, v2
	v_mov_b32_e32 v8, v11
	v_add_co_ci_u32_e32 v3, vcc_lo, v9, v3, vcc_lo
	v_mov_b32_e32 v9, v12
	global_store_dwordx2 v[2:3], v[11:12], off
	s_waitcnt_vscnt null, 0x0
	global_atomic_cmpswap_x2 v[8:9], v10, v[6:9], s[38:39] offset:24 glc
	s_waitcnt vmcnt(0)
	v_cmp_ne_u64_e32 vcc_lo, v[8:9], v[11:12]
	s_and_b32 exec_lo, exec_lo, vcc_lo
	s_cbranch_execz .LBB3_1155
; %bb.1153:
	s_mov_b32 s4, 0
.LBB3_1154:                             ; =>This Inner Loop Header: Depth=1
	s_sleep 1
	global_store_dwordx2 v[2:3], v[8:9], off
	s_waitcnt_vscnt null, 0x0
	global_atomic_cmpswap_x2 v[11:12], v10, v[6:9], s[38:39] offset:24 glc
	s_waitcnt vmcnt(0)
	v_cmp_eq_u64_e32 vcc_lo, v[11:12], v[8:9]
	v_mov_b32_e32 v8, v11
	v_mov_b32_e32 v9, v12
	s_or_b32 s4, vcc_lo, s4
	s_andn2_b32 exec_lo, exec_lo, s4
	s_cbranch_execnz .LBB3_1154
.LBB3_1155:
	s_or_b32 exec_lo, exec_lo, s5
	s_and_b32 vcc_lo, exec_lo, s42
	s_cbranch_vccz .LBB3_1234
; %bb.1156:
	s_waitcnt vmcnt(0)
	v_and_b32_e32 v33, 2, v0
	v_mov_b32_e32 v10, 0
	v_and_b32_e32 v6, -3, v0
	v_mov_b32_e32 v7, v1
	v_mov_b32_e32 v11, 2
	;; [unrolled: 1-line block ×3, first 2 shown]
	s_mov_b64 s[10:11], 3
	s_getpc_b64 s[6:7]
	s_add_u32 s6, s6, .str.9@rel32@lo+4
	s_addc_u32 s7, s7, .str.9@rel32@hi+12
	s_branch .LBB3_1158
.LBB3_1157:                             ;   in Loop: Header=BB3_1158 Depth=1
	s_or_b32 exec_lo, exec_lo, s5
	s_sub_u32 s10, s10, s16
	s_subb_u32 s11, s11, s17
	s_add_u32 s6, s6, s16
	s_addc_u32 s7, s7, s17
	s_cmp_lg_u64 s[10:11], 0
	s_cbranch_scc0 .LBB3_1233
.LBB3_1158:                             ; =>This Loop Header: Depth=1
                                        ;     Child Loop BB3_1167 Depth 2
                                        ;     Child Loop BB3_1163 Depth 2
	;; [unrolled: 1-line block ×11, first 2 shown]
	v_cmp_lt_u64_e64 s4, s[10:11], 56
	v_cmp_gt_u64_e64 s5, s[10:11], 7
                                        ; implicit-def: $vgpr15_vgpr16
                                        ; implicit-def: $sgpr22
	s_and_b32 s4, s4, exec_lo
	s_cselect_b32 s17, s11, 0
	s_cselect_b32 s16, s10, 56
	s_and_b32 vcc_lo, exec_lo, s5
	s_mov_b32 s4, -1
	s_cbranch_vccz .LBB3_1165
; %bb.1159:                             ;   in Loop: Header=BB3_1158 Depth=1
	s_andn2_b32 vcc_lo, exec_lo, s4
	s_mov_b64 s[4:5], s[6:7]
	s_cbranch_vccz .LBB3_1169
.LBB3_1160:                             ;   in Loop: Header=BB3_1158 Depth=1
	s_cmp_gt_u32 s22, 7
	s_cbranch_scc1 .LBB3_1170
.LBB3_1161:                             ;   in Loop: Header=BB3_1158 Depth=1
	v_mov_b32_e32 v17, 0
	v_mov_b32_e32 v18, 0
	s_cmp_eq_u32 s22, 0
	s_cbranch_scc1 .LBB3_1164
; %bb.1162:                             ;   in Loop: Header=BB3_1158 Depth=1
	s_mov_b64 s[18:19], 0
	s_mov_b64 s[20:21], 0
.LBB3_1163:                             ;   Parent Loop BB3_1158 Depth=1
                                        ; =>  This Inner Loop Header: Depth=2
	s_add_u32 s24, s4, s20
	s_addc_u32 s25, s5, s21
	s_add_u32 s20, s20, 1
	global_load_ubyte v2, v10, s[24:25]
	s_addc_u32 s21, s21, 0
	s_waitcnt vmcnt(0)
	v_and_b32_e32 v9, 0xffff, v2
	v_lshlrev_b64 v[2:3], s18, v[9:10]
	s_add_u32 s18, s18, 8
	s_addc_u32 s19, s19, 0
	s_cmp_lg_u32 s22, s20
	v_or_b32_e32 v17, v2, v17
	v_or_b32_e32 v18, v3, v18
	s_cbranch_scc1 .LBB3_1163
.LBB3_1164:                             ;   in Loop: Header=BB3_1158 Depth=1
	s_mov_b32 s23, 0
	s_cbranch_execz .LBB3_1171
	s_branch .LBB3_1172
.LBB3_1165:                             ;   in Loop: Header=BB3_1158 Depth=1
	v_mov_b32_e32 v15, 0
	v_mov_b32_e32 v16, 0
	s_cmp_eq_u64 s[10:11], 0
	s_mov_b64 s[4:5], 0
	s_cbranch_scc1 .LBB3_1168
; %bb.1166:                             ;   in Loop: Header=BB3_1158 Depth=1
	v_mov_b32_e32 v15, 0
	v_mov_b32_e32 v16, 0
	s_lshl_b64 s[18:19], s[16:17], 3
	s_mov_b64 s[20:21], s[6:7]
.LBB3_1167:                             ;   Parent Loop BB3_1158 Depth=1
                                        ; =>  This Inner Loop Header: Depth=2
	global_load_ubyte v2, v10, s[20:21]
	s_waitcnt vmcnt(0)
	v_and_b32_e32 v9, 0xffff, v2
	v_lshlrev_b64 v[2:3], s4, v[9:10]
	s_add_u32 s4, s4, 8
	s_addc_u32 s5, s5, 0
	s_add_u32 s20, s20, 1
	s_addc_u32 s21, s21, 0
	s_cmp_lg_u32 s18, s4
	v_or_b32_e32 v15, v2, v15
	v_or_b32_e32 v16, v3, v16
	s_cbranch_scc1 .LBB3_1167
.LBB3_1168:                             ;   in Loop: Header=BB3_1158 Depth=1
	s_mov_b32 s22, 0
	s_mov_b64 s[4:5], s[6:7]
	s_cbranch_execnz .LBB3_1160
.LBB3_1169:                             ;   in Loop: Header=BB3_1158 Depth=1
	global_load_dwordx2 v[15:16], v10, s[6:7]
	s_add_i32 s22, s16, -8
	s_add_u32 s4, s6, 8
	s_addc_u32 s5, s7, 0
	s_cmp_gt_u32 s22, 7
	s_cbranch_scc0 .LBB3_1161
.LBB3_1170:                             ;   in Loop: Header=BB3_1158 Depth=1
                                        ; implicit-def: $vgpr17_vgpr18
                                        ; implicit-def: $sgpr23
.LBB3_1171:                             ;   in Loop: Header=BB3_1158 Depth=1
	global_load_dwordx2 v[17:18], v10, s[4:5]
	s_add_i32 s23, s22, -8
	s_add_u32 s4, s4, 8
	s_addc_u32 s5, s5, 0
.LBB3_1172:                             ;   in Loop: Header=BB3_1158 Depth=1
	s_cmp_gt_u32 s23, 7
	s_cbranch_scc1 .LBB3_1177
; %bb.1173:                             ;   in Loop: Header=BB3_1158 Depth=1
	v_mov_b32_e32 v19, 0
	v_mov_b32_e32 v20, 0
	s_cmp_eq_u32 s23, 0
	s_cbranch_scc1 .LBB3_1176
; %bb.1174:                             ;   in Loop: Header=BB3_1158 Depth=1
	s_mov_b64 s[18:19], 0
	s_mov_b64 s[20:21], 0
.LBB3_1175:                             ;   Parent Loop BB3_1158 Depth=1
                                        ; =>  This Inner Loop Header: Depth=2
	s_add_u32 s24, s4, s20
	s_addc_u32 s25, s5, s21
	s_add_u32 s20, s20, 1
	global_load_ubyte v2, v10, s[24:25]
	s_addc_u32 s21, s21, 0
	s_waitcnt vmcnt(0)
	v_and_b32_e32 v9, 0xffff, v2
	v_lshlrev_b64 v[2:3], s18, v[9:10]
	s_add_u32 s18, s18, 8
	s_addc_u32 s19, s19, 0
	s_cmp_lg_u32 s23, s20
	v_or_b32_e32 v19, v2, v19
	v_or_b32_e32 v20, v3, v20
	s_cbranch_scc1 .LBB3_1175
.LBB3_1176:                             ;   in Loop: Header=BB3_1158 Depth=1
	s_mov_b32 s22, 0
	s_cbranch_execz .LBB3_1178
	s_branch .LBB3_1179
.LBB3_1177:                             ;   in Loop: Header=BB3_1158 Depth=1
                                        ; implicit-def: $sgpr22
.LBB3_1178:                             ;   in Loop: Header=BB3_1158 Depth=1
	global_load_dwordx2 v[19:20], v10, s[4:5]
	s_add_i32 s22, s23, -8
	s_add_u32 s4, s4, 8
	s_addc_u32 s5, s5, 0
.LBB3_1179:                             ;   in Loop: Header=BB3_1158 Depth=1
	s_cmp_gt_u32 s22, 7
	s_cbranch_scc1 .LBB3_1184
; %bb.1180:                             ;   in Loop: Header=BB3_1158 Depth=1
	v_mov_b32_e32 v21, 0
	v_mov_b32_e32 v22, 0
	s_cmp_eq_u32 s22, 0
	s_cbranch_scc1 .LBB3_1183
; %bb.1181:                             ;   in Loop: Header=BB3_1158 Depth=1
	s_mov_b64 s[18:19], 0
	s_mov_b64 s[20:21], 0
.LBB3_1182:                             ;   Parent Loop BB3_1158 Depth=1
                                        ; =>  This Inner Loop Header: Depth=2
	s_add_u32 s24, s4, s20
	s_addc_u32 s25, s5, s21
	s_add_u32 s20, s20, 1
	global_load_ubyte v2, v10, s[24:25]
	s_addc_u32 s21, s21, 0
	s_waitcnt vmcnt(0)
	v_and_b32_e32 v9, 0xffff, v2
	v_lshlrev_b64 v[2:3], s18, v[9:10]
	s_add_u32 s18, s18, 8
	s_addc_u32 s19, s19, 0
	s_cmp_lg_u32 s22, s20
	v_or_b32_e32 v21, v2, v21
	v_or_b32_e32 v22, v3, v22
	s_cbranch_scc1 .LBB3_1182
.LBB3_1183:                             ;   in Loop: Header=BB3_1158 Depth=1
	s_mov_b32 s23, 0
	s_cbranch_execz .LBB3_1185
	s_branch .LBB3_1186
.LBB3_1184:                             ;   in Loop: Header=BB3_1158 Depth=1
                                        ; implicit-def: $vgpr21_vgpr22
                                        ; implicit-def: $sgpr23
.LBB3_1185:                             ;   in Loop: Header=BB3_1158 Depth=1
	global_load_dwordx2 v[21:22], v10, s[4:5]
	s_add_i32 s23, s22, -8
	s_add_u32 s4, s4, 8
	s_addc_u32 s5, s5, 0
.LBB3_1186:                             ;   in Loop: Header=BB3_1158 Depth=1
	s_cmp_gt_u32 s23, 7
	s_cbranch_scc1 .LBB3_1191
; %bb.1187:                             ;   in Loop: Header=BB3_1158 Depth=1
	v_mov_b32_e32 v23, 0
	v_mov_b32_e32 v24, 0
	s_cmp_eq_u32 s23, 0
	s_cbranch_scc1 .LBB3_1190
; %bb.1188:                             ;   in Loop: Header=BB3_1158 Depth=1
	s_mov_b64 s[18:19], 0
	s_mov_b64 s[20:21], 0
.LBB3_1189:                             ;   Parent Loop BB3_1158 Depth=1
                                        ; =>  This Inner Loop Header: Depth=2
	s_add_u32 s24, s4, s20
	s_addc_u32 s25, s5, s21
	s_add_u32 s20, s20, 1
	global_load_ubyte v2, v10, s[24:25]
	s_addc_u32 s21, s21, 0
	s_waitcnt vmcnt(0)
	v_and_b32_e32 v9, 0xffff, v2
	v_lshlrev_b64 v[2:3], s18, v[9:10]
	s_add_u32 s18, s18, 8
	s_addc_u32 s19, s19, 0
	s_cmp_lg_u32 s23, s20
	v_or_b32_e32 v23, v2, v23
	v_or_b32_e32 v24, v3, v24
	s_cbranch_scc1 .LBB3_1189
.LBB3_1190:                             ;   in Loop: Header=BB3_1158 Depth=1
	s_mov_b32 s22, 0
	s_cbranch_execz .LBB3_1192
	s_branch .LBB3_1193
.LBB3_1191:                             ;   in Loop: Header=BB3_1158 Depth=1
                                        ; implicit-def: $sgpr22
.LBB3_1192:                             ;   in Loop: Header=BB3_1158 Depth=1
	global_load_dwordx2 v[23:24], v10, s[4:5]
	s_add_i32 s22, s23, -8
	s_add_u32 s4, s4, 8
	s_addc_u32 s5, s5, 0
.LBB3_1193:                             ;   in Loop: Header=BB3_1158 Depth=1
	s_cmp_gt_u32 s22, 7
	s_cbranch_scc1 .LBB3_1198
; %bb.1194:                             ;   in Loop: Header=BB3_1158 Depth=1
	v_mov_b32_e32 v25, 0
	v_mov_b32_e32 v26, 0
	s_cmp_eq_u32 s22, 0
	s_cbranch_scc1 .LBB3_1197
; %bb.1195:                             ;   in Loop: Header=BB3_1158 Depth=1
	s_mov_b64 s[18:19], 0
	s_mov_b64 s[20:21], 0
.LBB3_1196:                             ;   Parent Loop BB3_1158 Depth=1
                                        ; =>  This Inner Loop Header: Depth=2
	s_add_u32 s24, s4, s20
	s_addc_u32 s25, s5, s21
	s_add_u32 s20, s20, 1
	global_load_ubyte v2, v10, s[24:25]
	s_addc_u32 s21, s21, 0
	s_waitcnt vmcnt(0)
	v_and_b32_e32 v9, 0xffff, v2
	v_lshlrev_b64 v[2:3], s18, v[9:10]
	s_add_u32 s18, s18, 8
	s_addc_u32 s19, s19, 0
	s_cmp_lg_u32 s22, s20
	v_or_b32_e32 v25, v2, v25
	v_or_b32_e32 v26, v3, v26
	s_cbranch_scc1 .LBB3_1196
.LBB3_1197:                             ;   in Loop: Header=BB3_1158 Depth=1
	s_mov_b32 s23, 0
	s_cbranch_execz .LBB3_1199
	s_branch .LBB3_1200
.LBB3_1198:                             ;   in Loop: Header=BB3_1158 Depth=1
                                        ; implicit-def: $vgpr25_vgpr26
                                        ; implicit-def: $sgpr23
.LBB3_1199:                             ;   in Loop: Header=BB3_1158 Depth=1
	global_load_dwordx2 v[25:26], v10, s[4:5]
	s_add_i32 s23, s22, -8
	s_add_u32 s4, s4, 8
	s_addc_u32 s5, s5, 0
.LBB3_1200:                             ;   in Loop: Header=BB3_1158 Depth=1
	s_cmp_gt_u32 s23, 7
	s_cbranch_scc1 .LBB3_1205
; %bb.1201:                             ;   in Loop: Header=BB3_1158 Depth=1
	v_mov_b32_e32 v27, 0
	v_mov_b32_e32 v28, 0
	s_cmp_eq_u32 s23, 0
	s_cbranch_scc1 .LBB3_1204
; %bb.1202:                             ;   in Loop: Header=BB3_1158 Depth=1
	s_mov_b64 s[18:19], 0
	s_mov_b64 s[20:21], s[4:5]
.LBB3_1203:                             ;   Parent Loop BB3_1158 Depth=1
                                        ; =>  This Inner Loop Header: Depth=2
	global_load_ubyte v2, v10, s[20:21]
	s_add_i32 s23, s23, -1
	s_waitcnt vmcnt(0)
	v_and_b32_e32 v9, 0xffff, v2
	v_lshlrev_b64 v[2:3], s18, v[9:10]
	s_add_u32 s18, s18, 8
	s_addc_u32 s19, s19, 0
	s_add_u32 s20, s20, 1
	s_addc_u32 s21, s21, 0
	s_cmp_lg_u32 s23, 0
	v_or_b32_e32 v27, v2, v27
	v_or_b32_e32 v28, v3, v28
	s_cbranch_scc1 .LBB3_1203
.LBB3_1204:                             ;   in Loop: Header=BB3_1158 Depth=1
	s_cbranch_execz .LBB3_1206
	s_branch .LBB3_1207
.LBB3_1205:                             ;   in Loop: Header=BB3_1158 Depth=1
.LBB3_1206:                             ;   in Loop: Header=BB3_1158 Depth=1
	global_load_dwordx2 v[27:28], v10, s[4:5]
.LBB3_1207:                             ;   in Loop: Header=BB3_1158 Depth=1
	v_readfirstlane_b32 s4, v51
	v_mov_b32_e32 v2, 0
	v_mov_b32_e32 v3, 0
	v_cmp_eq_u32_e64 s4, s4, v51
	s_and_saveexec_b32 s5, s4
	s_cbranch_execz .LBB3_1213
; %bb.1208:                             ;   in Loop: Header=BB3_1158 Depth=1
	global_load_dwordx2 v[31:32], v10, s[38:39] offset:24 glc dlc
	s_waitcnt vmcnt(0)
	buffer_gl1_inv
	buffer_gl0_inv
	s_clause 0x1
	global_load_dwordx2 v[2:3], v10, s[38:39] offset:40
	global_load_dwordx2 v[8:9], v10, s[38:39]
	s_mov_b32 s18, exec_lo
	s_waitcnt vmcnt(1)
	v_and_b32_e32 v3, v3, v32
	v_and_b32_e32 v2, v2, v31
	v_mul_lo_u32 v3, v3, 24
	v_mul_hi_u32 v13, v2, 24
	v_mul_lo_u32 v2, v2, 24
	v_add_nc_u32_e32 v3, v13, v3
	s_waitcnt vmcnt(0)
	v_add_co_u32 v2, vcc_lo, v8, v2
	v_add_co_ci_u32_e32 v3, vcc_lo, v9, v3, vcc_lo
	global_load_dwordx2 v[29:30], v[2:3], off glc dlc
	s_waitcnt vmcnt(0)
	global_atomic_cmpswap_x2 v[2:3], v10, v[29:32], s[38:39] offset:24 glc
	s_waitcnt vmcnt(0)
	buffer_gl1_inv
	buffer_gl0_inv
	v_cmpx_ne_u64_e64 v[2:3], v[31:32]
	s_cbranch_execz .LBB3_1212
; %bb.1209:                             ;   in Loop: Header=BB3_1158 Depth=1
	s_mov_b32 s19, 0
	.p2align	6
.LBB3_1210:                             ;   Parent Loop BB3_1158 Depth=1
                                        ; =>  This Inner Loop Header: Depth=2
	s_sleep 1
	s_clause 0x1
	global_load_dwordx2 v[8:9], v10, s[38:39] offset:40
	global_load_dwordx2 v[13:14], v10, s[38:39]
	v_mov_b32_e32 v32, v3
	v_mov_b32_e32 v31, v2
	s_waitcnt vmcnt(1)
	v_and_b32_e32 v2, v8, v31
	v_and_b32_e32 v8, v9, v32
	s_waitcnt vmcnt(0)
	v_mad_u64_u32 v[2:3], null, v2, 24, v[13:14]
	v_mad_u64_u32 v[8:9], null, v8, 24, v[3:4]
	v_mov_b32_e32 v3, v8
	global_load_dwordx2 v[29:30], v[2:3], off glc dlc
	s_waitcnt vmcnt(0)
	global_atomic_cmpswap_x2 v[2:3], v10, v[29:32], s[38:39] offset:24 glc
	s_waitcnt vmcnt(0)
	buffer_gl1_inv
	buffer_gl0_inv
	v_cmp_eq_u64_e32 vcc_lo, v[2:3], v[31:32]
	s_or_b32 s19, vcc_lo, s19
	s_andn2_b32 exec_lo, exec_lo, s19
	s_cbranch_execnz .LBB3_1210
; %bb.1211:                             ;   in Loop: Header=BB3_1158 Depth=1
	s_or_b32 exec_lo, exec_lo, s19
.LBB3_1212:                             ;   in Loop: Header=BB3_1158 Depth=1
	s_or_b32 exec_lo, exec_lo, s18
.LBB3_1213:                             ;   in Loop: Header=BB3_1158 Depth=1
	s_or_b32 exec_lo, exec_lo, s5
	s_clause 0x1
	global_load_dwordx2 v[8:9], v10, s[38:39] offset:40
	global_load_dwordx4 v[29:32], v10, s[38:39]
	v_readfirstlane_b32 s18, v2
	v_readfirstlane_b32 s19, v3
	s_mov_b32 s5, exec_lo
	s_waitcnt vmcnt(1)
	v_readfirstlane_b32 s20, v8
	v_readfirstlane_b32 s21, v9
	s_and_b64 s[20:21], s[18:19], s[20:21]
	s_mul_i32 s22, s21, 24
	s_mul_hi_u32 s23, s20, 24
	s_mul_i32 s24, s20, 24
	s_add_i32 s23, s23, s22
	s_waitcnt vmcnt(0)
	v_add_co_u32 v2, vcc_lo, v29, s24
	v_add_co_ci_u32_e32 v3, vcc_lo, s23, v30, vcc_lo
	s_and_saveexec_b32 s22, s4
	s_cbranch_execz .LBB3_1215
; %bb.1214:                             ;   in Loop: Header=BB3_1158 Depth=1
	v_mov_b32_e32 v9, s5
	global_store_dwordx4 v[2:3], v[9:12], off offset:8
.LBB3_1215:                             ;   in Loop: Header=BB3_1158 Depth=1
	s_or_b32 exec_lo, exec_lo, s22
	s_lshl_b64 s[20:21], s[20:21], 12
	v_cmp_gt_u64_e64 vcc_lo, s[10:11], 56
	v_or_b32_e32 v9, v6, v33
	v_add_co_u32 v31, s5, v31, s20
	v_add_co_ci_u32_e64 v32, s5, s21, v32, s5
	s_lshl_b32 s5, s16, 2
	v_or_b32_e32 v8, 0, v7
	v_cndmask_b32_e32 v6, v9, v6, vcc_lo
	s_add_i32 s5, s5, 28
	v_readfirstlane_b32 s20, v31
	s_and_b32 s5, s5, 0x1e0
	v_cndmask_b32_e32 v14, v8, v7, vcc_lo
	v_readfirstlane_b32 s21, v32
	v_and_or_b32 v13, 0xffffff1f, v6, s5
	global_store_dwordx4 v50, v[13:16], s[20:21]
	global_store_dwordx4 v50, v[17:20], s[20:21] offset:16
	global_store_dwordx4 v50, v[21:24], s[20:21] offset:32
	;; [unrolled: 1-line block ×3, first 2 shown]
	s_and_saveexec_b32 s5, s4
	s_cbranch_execz .LBB3_1223
; %bb.1216:                             ;   in Loop: Header=BB3_1158 Depth=1
	s_clause 0x1
	global_load_dwordx2 v[17:18], v10, s[38:39] offset:32 glc dlc
	global_load_dwordx2 v[6:7], v10, s[38:39] offset:40
	v_mov_b32_e32 v15, s18
	v_mov_b32_e32 v16, s19
	s_waitcnt vmcnt(0)
	v_readfirstlane_b32 s20, v6
	v_readfirstlane_b32 s21, v7
	s_and_b64 s[20:21], s[20:21], s[18:19]
	s_mul_i32 s21, s21, 24
	s_mul_hi_u32 s22, s20, 24
	s_mul_i32 s20, s20, 24
	s_add_i32 s22, s22, s21
	v_add_co_u32 v13, vcc_lo, v29, s20
	v_add_co_ci_u32_e32 v14, vcc_lo, s22, v30, vcc_lo
	s_mov_b32 s20, exec_lo
	global_store_dwordx2 v[13:14], v[17:18], off
	s_waitcnt_vscnt null, 0x0
	global_atomic_cmpswap_x2 v[8:9], v10, v[15:18], s[38:39] offset:32 glc
	s_waitcnt vmcnt(0)
	v_cmpx_ne_u64_e64 v[8:9], v[17:18]
	s_cbranch_execz .LBB3_1219
; %bb.1217:                             ;   in Loop: Header=BB3_1158 Depth=1
	s_mov_b32 s21, 0
.LBB3_1218:                             ;   Parent Loop BB3_1158 Depth=1
                                        ; =>  This Inner Loop Header: Depth=2
	v_mov_b32_e32 v6, s18
	v_mov_b32_e32 v7, s19
	s_sleep 1
	global_store_dwordx2 v[13:14], v[8:9], off
	s_waitcnt_vscnt null, 0x0
	global_atomic_cmpswap_x2 v[6:7], v10, v[6:9], s[38:39] offset:32 glc
	s_waitcnt vmcnt(0)
	v_cmp_eq_u64_e32 vcc_lo, v[6:7], v[8:9]
	v_mov_b32_e32 v9, v7
	v_mov_b32_e32 v8, v6
	s_or_b32 s21, vcc_lo, s21
	s_andn2_b32 exec_lo, exec_lo, s21
	s_cbranch_execnz .LBB3_1218
.LBB3_1219:                             ;   in Loop: Header=BB3_1158 Depth=1
	s_or_b32 exec_lo, exec_lo, s20
	global_load_dwordx2 v[6:7], v10, s[38:39] offset:16
	s_mov_b32 s21, exec_lo
	s_mov_b32 s20, exec_lo
	v_mbcnt_lo_u32_b32 v8, s21, 0
	v_cmpx_eq_u32_e32 0, v8
	s_cbranch_execz .LBB3_1221
; %bb.1220:                             ;   in Loop: Header=BB3_1158 Depth=1
	s_bcnt1_i32_b32 s21, s21
	v_mov_b32_e32 v9, s21
	s_waitcnt vmcnt(0)
	global_atomic_add_x2 v[6:7], v[9:10], off offset:8
.LBB3_1221:                             ;   in Loop: Header=BB3_1158 Depth=1
	s_or_b32 exec_lo, exec_lo, s20
	s_waitcnt vmcnt(0)
	global_load_dwordx2 v[13:14], v[6:7], off offset:16
	s_waitcnt vmcnt(0)
	v_cmp_eq_u64_e32 vcc_lo, 0, v[13:14]
	s_cbranch_vccnz .LBB3_1223
; %bb.1222:                             ;   in Loop: Header=BB3_1158 Depth=1
	global_load_dword v9, v[6:7], off offset:24
	s_waitcnt vmcnt(0)
	v_and_b32_e32 v6, 0x7fffff, v9
	s_waitcnt_vscnt null, 0x0
	global_store_dwordx2 v[13:14], v[9:10], off
	v_readfirstlane_b32 m0, v6
	s_sendmsg sendmsg(MSG_INTERRUPT)
.LBB3_1223:                             ;   in Loop: Header=BB3_1158 Depth=1
	s_or_b32 exec_lo, exec_lo, s5
	v_add_co_u32 v6, vcc_lo, v31, v50
	v_add_co_ci_u32_e32 v7, vcc_lo, 0, v32, vcc_lo
	s_branch .LBB3_1227
	.p2align	6
.LBB3_1224:                             ;   in Loop: Header=BB3_1227 Depth=2
	s_or_b32 exec_lo, exec_lo, s5
	v_readfirstlane_b32 s5, v8
	s_cmp_eq_u32 s5, 0
	s_cbranch_scc1 .LBB3_1226
; %bb.1225:                             ;   in Loop: Header=BB3_1227 Depth=2
	s_sleep 1
	s_cbranch_execnz .LBB3_1227
	s_branch .LBB3_1229
	.p2align	6
.LBB3_1226:                             ;   in Loop: Header=BB3_1158 Depth=1
	s_branch .LBB3_1229
.LBB3_1227:                             ;   Parent Loop BB3_1158 Depth=1
                                        ; =>  This Inner Loop Header: Depth=2
	v_mov_b32_e32 v8, 1
	s_and_saveexec_b32 s5, s4
	s_cbranch_execz .LBB3_1224
; %bb.1228:                             ;   in Loop: Header=BB3_1227 Depth=2
	global_load_dword v8, v[2:3], off offset:20 glc dlc
	s_waitcnt vmcnt(0)
	buffer_gl1_inv
	buffer_gl0_inv
	v_and_b32_e32 v8, 1, v8
	s_branch .LBB3_1224
.LBB3_1229:                             ;   in Loop: Header=BB3_1158 Depth=1
	global_load_dwordx4 v[6:9], v[6:7], off
	s_and_saveexec_b32 s5, s4
	s_cbranch_execz .LBB3_1157
; %bb.1230:                             ;   in Loop: Header=BB3_1158 Depth=1
	s_clause 0x2
	global_load_dwordx2 v[2:3], v10, s[38:39] offset:40
	global_load_dwordx2 v[8:9], v10, s[38:39] offset:24 glc dlc
	global_load_dwordx2 v[15:16], v10, s[38:39]
	s_waitcnt vmcnt(2)
	v_add_co_u32 v17, vcc_lo, v2, 1
	v_add_co_ci_u32_e32 v18, vcc_lo, 0, v3, vcc_lo
	v_add_co_u32 v13, vcc_lo, v17, s18
	v_add_co_ci_u32_e32 v14, vcc_lo, s19, v18, vcc_lo
	v_cmp_eq_u64_e32 vcc_lo, 0, v[13:14]
	v_cndmask_b32_e32 v14, v14, v18, vcc_lo
	v_cndmask_b32_e32 v13, v13, v17, vcc_lo
	v_and_b32_e32 v3, v14, v3
	v_and_b32_e32 v2, v13, v2
	v_mul_lo_u32 v3, v3, 24
	v_mul_hi_u32 v17, v2, 24
	v_mul_lo_u32 v2, v2, 24
	v_add_nc_u32_e32 v3, v17, v3
	s_waitcnt vmcnt(0)
	v_add_co_u32 v2, vcc_lo, v15, v2
	v_mov_b32_e32 v15, v8
	v_add_co_ci_u32_e32 v3, vcc_lo, v16, v3, vcc_lo
	v_mov_b32_e32 v16, v9
	global_store_dwordx2 v[2:3], v[8:9], off
	s_waitcnt_vscnt null, 0x0
	global_atomic_cmpswap_x2 v[15:16], v10, v[13:16], s[38:39] offset:24 glc
	s_waitcnt vmcnt(0)
	v_cmp_ne_u64_e32 vcc_lo, v[15:16], v[8:9]
	s_and_b32 exec_lo, exec_lo, vcc_lo
	s_cbranch_execz .LBB3_1157
; %bb.1231:                             ;   in Loop: Header=BB3_1158 Depth=1
	s_mov_b32 s4, 0
.LBB3_1232:                             ;   Parent Loop BB3_1158 Depth=1
                                        ; =>  This Inner Loop Header: Depth=2
	s_sleep 1
	global_store_dwordx2 v[2:3], v[15:16], off
	s_waitcnt_vscnt null, 0x0
	global_atomic_cmpswap_x2 v[8:9], v10, v[13:16], s[38:39] offset:24 glc
	s_waitcnt vmcnt(0)
	v_cmp_eq_u64_e32 vcc_lo, v[8:9], v[15:16]
	v_mov_b32_e32 v16, v9
	v_mov_b32_e32 v15, v8
	s_or_b32 s4, vcc_lo, s4
	s_andn2_b32 exec_lo, exec_lo, s4
	s_cbranch_execnz .LBB3_1232
	s_branch .LBB3_1157
.LBB3_1233:
	s_branch .LBB3_1262
.LBB3_1234:
                                        ; implicit-def: $vgpr6_vgpr7
	s_cbranch_execz .LBB3_1262
; %bb.1235:
	v_readfirstlane_b32 s4, v51
	v_mov_b32_e32 v10, 0
	v_mov_b32_e32 v11, 0
	v_cmp_eq_u32_e64 s4, s4, v51
	s_and_saveexec_b32 s5, s4
	s_cbranch_execz .LBB3_1241
; %bb.1236:
	v_mov_b32_e32 v2, 0
	s_mov_b32 s6, exec_lo
	global_load_dwordx2 v[8:9], v2, s[38:39] offset:24 glc dlc
	s_waitcnt vmcnt(0)
	buffer_gl1_inv
	buffer_gl0_inv
	s_clause 0x1
	global_load_dwordx2 v[6:7], v2, s[38:39] offset:40
	global_load_dwordx2 v[10:11], v2, s[38:39]
	s_waitcnt vmcnt(1)
	v_and_b32_e32 v3, v7, v9
	v_and_b32_e32 v6, v6, v8
	v_mul_lo_u32 v3, v3, 24
	v_mul_hi_u32 v7, v6, 24
	v_mul_lo_u32 v6, v6, 24
	v_add_nc_u32_e32 v3, v7, v3
	s_waitcnt vmcnt(0)
	v_add_co_u32 v6, vcc_lo, v10, v6
	v_add_co_ci_u32_e32 v7, vcc_lo, v11, v3, vcc_lo
	global_load_dwordx2 v[6:7], v[6:7], off glc dlc
	s_waitcnt vmcnt(0)
	global_atomic_cmpswap_x2 v[10:11], v2, v[6:9], s[38:39] offset:24 glc
	s_waitcnt vmcnt(0)
	buffer_gl1_inv
	buffer_gl0_inv
	v_cmpx_ne_u64_e64 v[10:11], v[8:9]
	s_cbranch_execz .LBB3_1240
; %bb.1237:
	s_mov_b32 s7, 0
	.p2align	6
.LBB3_1238:                             ; =>This Inner Loop Header: Depth=1
	s_sleep 1
	s_clause 0x1
	global_load_dwordx2 v[6:7], v2, s[38:39] offset:40
	global_load_dwordx2 v[12:13], v2, s[38:39]
	v_mov_b32_e32 v8, v10
	v_mov_b32_e32 v9, v11
	s_waitcnt vmcnt(1)
	v_and_b32_e32 v3, v6, v8
	v_and_b32_e32 v6, v7, v9
	s_waitcnt vmcnt(0)
	v_mad_u64_u32 v[10:11], null, v3, 24, v[12:13]
	v_mov_b32_e32 v3, v11
	v_mad_u64_u32 v[6:7], null, v6, 24, v[3:4]
	v_mov_b32_e32 v11, v6
	global_load_dwordx2 v[6:7], v[10:11], off glc dlc
	s_waitcnt vmcnt(0)
	global_atomic_cmpswap_x2 v[10:11], v2, v[6:9], s[38:39] offset:24 glc
	s_waitcnt vmcnt(0)
	buffer_gl1_inv
	buffer_gl0_inv
	v_cmp_eq_u64_e32 vcc_lo, v[10:11], v[8:9]
	s_or_b32 s7, vcc_lo, s7
	s_andn2_b32 exec_lo, exec_lo, s7
	s_cbranch_execnz .LBB3_1238
; %bb.1239:
	s_or_b32 exec_lo, exec_lo, s7
.LBB3_1240:
	s_or_b32 exec_lo, exec_lo, s6
.LBB3_1241:
	s_or_b32 exec_lo, exec_lo, s5
	v_mov_b32_e32 v2, 0
	v_readfirstlane_b32 s6, v10
	v_readfirstlane_b32 s7, v11
	s_mov_b32 s5, exec_lo
	s_clause 0x1
	global_load_dwordx2 v[12:13], v2, s[38:39] offset:40
	global_load_dwordx4 v[6:9], v2, s[38:39]
	s_waitcnt vmcnt(1)
	v_readfirstlane_b32 s10, v12
	v_readfirstlane_b32 s11, v13
	s_and_b64 s[10:11], s[6:7], s[10:11]
	s_mul_i32 s16, s11, 24
	s_mul_hi_u32 s17, s10, 24
	s_mul_i32 s18, s10, 24
	s_add_i32 s17, s17, s16
	s_waitcnt vmcnt(0)
	v_add_co_u32 v10, vcc_lo, v6, s18
	v_add_co_ci_u32_e32 v11, vcc_lo, s17, v7, vcc_lo
	s_and_saveexec_b32 s16, s4
	s_cbranch_execz .LBB3_1243
; %bb.1242:
	v_mov_b32_e32 v12, s5
	v_mov_b32_e32 v13, v2
	;; [unrolled: 1-line block ×4, first 2 shown]
	global_store_dwordx4 v[10:11], v[12:15], off offset:8
.LBB3_1243:
	s_or_b32 exec_lo, exec_lo, s16
	s_lshl_b64 s[10:11], s[10:11], 12
	s_mov_b32 s16, 0
	v_add_co_u32 v8, vcc_lo, v8, s10
	v_add_co_ci_u32_e32 v9, vcc_lo, s11, v9, vcc_lo
	s_mov_b32 s17, s16
	v_readfirstlane_b32 s10, v8
	v_add_co_u32 v8, vcc_lo, v8, v50
	s_mov_b32 s18, s16
	s_mov_b32 s19, s16
	v_and_or_b32 v0, 0xffffff1f, v0, 32
	v_mov_b32_e32 v3, v2
	v_readfirstlane_b32 s11, v9
	v_mov_b32_e32 v12, s16
	v_add_co_ci_u32_e32 v9, vcc_lo, 0, v9, vcc_lo
	v_mov_b32_e32 v13, s17
	v_mov_b32_e32 v14, s18
	;; [unrolled: 1-line block ×3, first 2 shown]
	global_store_dwordx4 v50, v[0:3], s[10:11]
	global_store_dwordx4 v50, v[12:15], s[10:11] offset:16
	global_store_dwordx4 v50, v[12:15], s[10:11] offset:32
	;; [unrolled: 1-line block ×3, first 2 shown]
	s_and_saveexec_b32 s5, s4
	s_cbranch_execz .LBB3_1251
; %bb.1244:
	v_mov_b32_e32 v12, 0
	v_mov_b32_e32 v13, s6
	;; [unrolled: 1-line block ×3, first 2 shown]
	s_clause 0x1
	global_load_dwordx2 v[15:16], v12, s[38:39] offset:32 glc dlc
	global_load_dwordx2 v[0:1], v12, s[38:39] offset:40
	s_waitcnt vmcnt(0)
	v_readfirstlane_b32 s10, v0
	v_readfirstlane_b32 s11, v1
	s_and_b64 s[10:11], s[10:11], s[6:7]
	s_mul_i32 s11, s11, 24
	s_mul_hi_u32 s16, s10, 24
	s_mul_i32 s10, s10, 24
	s_add_i32 s16, s16, s11
	v_add_co_u32 v6, vcc_lo, v6, s10
	v_add_co_ci_u32_e32 v7, vcc_lo, s16, v7, vcc_lo
	s_mov_b32 s10, exec_lo
	global_store_dwordx2 v[6:7], v[15:16], off
	s_waitcnt_vscnt null, 0x0
	global_atomic_cmpswap_x2 v[2:3], v12, v[13:16], s[38:39] offset:32 glc
	s_waitcnt vmcnt(0)
	v_cmpx_ne_u64_e64 v[2:3], v[15:16]
	s_cbranch_execz .LBB3_1247
; %bb.1245:
	s_mov_b32 s11, 0
.LBB3_1246:                             ; =>This Inner Loop Header: Depth=1
	v_mov_b32_e32 v0, s6
	v_mov_b32_e32 v1, s7
	s_sleep 1
	global_store_dwordx2 v[6:7], v[2:3], off
	s_waitcnt_vscnt null, 0x0
	global_atomic_cmpswap_x2 v[0:1], v12, v[0:3], s[38:39] offset:32 glc
	s_waitcnt vmcnt(0)
	v_cmp_eq_u64_e32 vcc_lo, v[0:1], v[2:3]
	v_mov_b32_e32 v3, v1
	v_mov_b32_e32 v2, v0
	s_or_b32 s11, vcc_lo, s11
	s_andn2_b32 exec_lo, exec_lo, s11
	s_cbranch_execnz .LBB3_1246
.LBB3_1247:
	s_or_b32 exec_lo, exec_lo, s10
	v_mov_b32_e32 v3, 0
	s_mov_b32 s11, exec_lo
	s_mov_b32 s10, exec_lo
	v_mbcnt_lo_u32_b32 v2, s11, 0
	global_load_dwordx2 v[0:1], v3, s[38:39] offset:16
	v_cmpx_eq_u32_e32 0, v2
	s_cbranch_execz .LBB3_1249
; %bb.1248:
	s_bcnt1_i32_b32 s11, s11
	v_mov_b32_e32 v2, s11
	s_waitcnt vmcnt(0)
	global_atomic_add_x2 v[0:1], v[2:3], off offset:8
.LBB3_1249:
	s_or_b32 exec_lo, exec_lo, s10
	s_waitcnt vmcnt(0)
	global_load_dwordx2 v[2:3], v[0:1], off offset:16
	s_waitcnt vmcnt(0)
	v_cmp_eq_u64_e32 vcc_lo, 0, v[2:3]
	s_cbranch_vccnz .LBB3_1251
; %bb.1250:
	global_load_dword v0, v[0:1], off offset:24
	v_mov_b32_e32 v1, 0
	s_waitcnt vmcnt(0)
	v_and_b32_e32 v6, 0x7fffff, v0
	s_waitcnt_vscnt null, 0x0
	global_store_dwordx2 v[2:3], v[0:1], off
	v_readfirstlane_b32 m0, v6
	s_sendmsg sendmsg(MSG_INTERRUPT)
.LBB3_1251:
	s_or_b32 exec_lo, exec_lo, s5
	s_branch .LBB3_1255
	.p2align	6
.LBB3_1252:                             ;   in Loop: Header=BB3_1255 Depth=1
	s_or_b32 exec_lo, exec_lo, s5
	v_readfirstlane_b32 s5, v0
	s_cmp_eq_u32 s5, 0
	s_cbranch_scc1 .LBB3_1254
; %bb.1253:                             ;   in Loop: Header=BB3_1255 Depth=1
	s_sleep 1
	s_cbranch_execnz .LBB3_1255
	s_branch .LBB3_1257
	.p2align	6
.LBB3_1254:
	s_branch .LBB3_1257
.LBB3_1255:                             ; =>This Inner Loop Header: Depth=1
	v_mov_b32_e32 v0, 1
	s_and_saveexec_b32 s5, s4
	s_cbranch_execz .LBB3_1252
; %bb.1256:                             ;   in Loop: Header=BB3_1255 Depth=1
	global_load_dword v0, v[10:11], off offset:20 glc dlc
	s_waitcnt vmcnt(0)
	buffer_gl1_inv
	buffer_gl0_inv
	v_and_b32_e32 v0, 1, v0
	s_branch .LBB3_1252
.LBB3_1257:
	global_load_dwordx2 v[6:7], v[8:9], off
	s_and_saveexec_b32 s5, s4
	s_cbranch_execz .LBB3_1261
; %bb.1258:
	v_mov_b32_e32 v10, 0
	s_clause 0x2
	global_load_dwordx2 v[2:3], v10, s[38:39] offset:40
	global_load_dwordx2 v[11:12], v10, s[38:39] offset:24 glc dlc
	global_load_dwordx2 v[8:9], v10, s[38:39]
	s_waitcnt vmcnt(2)
	v_add_co_u32 v13, vcc_lo, v2, 1
	v_add_co_ci_u32_e32 v14, vcc_lo, 0, v3, vcc_lo
	v_add_co_u32 v0, vcc_lo, v13, s6
	v_add_co_ci_u32_e32 v1, vcc_lo, s7, v14, vcc_lo
	v_cmp_eq_u64_e32 vcc_lo, 0, v[0:1]
	v_cndmask_b32_e32 v1, v1, v14, vcc_lo
	v_cndmask_b32_e32 v0, v0, v13, vcc_lo
	v_and_b32_e32 v3, v1, v3
	v_and_b32_e32 v2, v0, v2
	v_mul_lo_u32 v3, v3, 24
	v_mul_hi_u32 v13, v2, 24
	v_mul_lo_u32 v2, v2, 24
	v_add_nc_u32_e32 v3, v13, v3
	s_waitcnt vmcnt(0)
	v_add_co_u32 v8, vcc_lo, v8, v2
	v_mov_b32_e32 v2, v11
	v_add_co_ci_u32_e32 v9, vcc_lo, v9, v3, vcc_lo
	v_mov_b32_e32 v3, v12
	global_store_dwordx2 v[8:9], v[11:12], off
	s_waitcnt_vscnt null, 0x0
	global_atomic_cmpswap_x2 v[2:3], v10, v[0:3], s[38:39] offset:24 glc
	s_waitcnt vmcnt(0)
	v_cmp_ne_u64_e32 vcc_lo, v[2:3], v[11:12]
	s_and_b32 exec_lo, exec_lo, vcc_lo
	s_cbranch_execz .LBB3_1261
; %bb.1259:
	s_mov_b32 s4, 0
.LBB3_1260:                             ; =>This Inner Loop Header: Depth=1
	s_sleep 1
	global_store_dwordx2 v[8:9], v[2:3], off
	s_waitcnt_vscnt null, 0x0
	global_atomic_cmpswap_x2 v[11:12], v10, v[0:3], s[38:39] offset:24 glc
	s_waitcnt vmcnt(0)
	v_cmp_eq_u64_e32 vcc_lo, v[11:12], v[2:3]
	v_mov_b32_e32 v2, v11
	v_mov_b32_e32 v3, v12
	s_or_b32 s4, vcc_lo, s4
	s_andn2_b32 exec_lo, exec_lo, s4
	s_cbranch_execnz .LBB3_1260
.LBB3_1261:
	s_or_b32 exec_lo, exec_lo, s5
.LBB3_1262:
	v_readfirstlane_b32 s4, v51
	v_mov_b32_e32 v10, 0
	v_mov_b32_e32 v11, 0
	v_cmp_eq_u32_e64 s4, s4, v51
	s_and_saveexec_b32 s5, s4
	s_cbranch_execz .LBB3_1268
; %bb.1263:
	s_waitcnt vmcnt(0)
	v_mov_b32_e32 v0, 0
	s_mov_b32 s6, exec_lo
	global_load_dwordx2 v[12:13], v0, s[38:39] offset:24 glc dlc
	s_waitcnt vmcnt(0)
	buffer_gl1_inv
	buffer_gl0_inv
	s_clause 0x1
	global_load_dwordx2 v[1:2], v0, s[38:39] offset:40
	global_load_dwordx2 v[8:9], v0, s[38:39]
	s_waitcnt vmcnt(1)
	v_and_b32_e32 v2, v2, v13
	v_and_b32_e32 v1, v1, v12
	v_mul_lo_u32 v2, v2, 24
	v_mul_hi_u32 v3, v1, 24
	v_mul_lo_u32 v1, v1, 24
	v_add_nc_u32_e32 v2, v3, v2
	s_waitcnt vmcnt(0)
	v_add_co_u32 v1, vcc_lo, v8, v1
	v_add_co_ci_u32_e32 v2, vcc_lo, v9, v2, vcc_lo
	global_load_dwordx2 v[10:11], v[1:2], off glc dlc
	s_waitcnt vmcnt(0)
	global_atomic_cmpswap_x2 v[10:11], v0, v[10:13], s[38:39] offset:24 glc
	s_waitcnt vmcnt(0)
	buffer_gl1_inv
	buffer_gl0_inv
	v_cmpx_ne_u64_e64 v[10:11], v[12:13]
	s_cbranch_execz .LBB3_1267
; %bb.1264:
	s_mov_b32 s7, 0
	.p2align	6
.LBB3_1265:                             ; =>This Inner Loop Header: Depth=1
	s_sleep 1
	s_clause 0x1
	global_load_dwordx2 v[1:2], v0, s[38:39] offset:40
	global_load_dwordx2 v[8:9], v0, s[38:39]
	v_mov_b32_e32 v13, v11
	v_mov_b32_e32 v12, v10
	s_waitcnt vmcnt(1)
	v_and_b32_e32 v1, v1, v12
	v_and_b32_e32 v2, v2, v13
	s_waitcnt vmcnt(0)
	v_mad_u64_u32 v[8:9], null, v1, 24, v[8:9]
	v_mov_b32_e32 v1, v9
	v_mad_u64_u32 v[1:2], null, v2, 24, v[1:2]
	v_mov_b32_e32 v9, v1
	global_load_dwordx2 v[10:11], v[8:9], off glc dlc
	s_waitcnt vmcnt(0)
	global_atomic_cmpswap_x2 v[10:11], v0, v[10:13], s[38:39] offset:24 glc
	s_waitcnt vmcnt(0)
	buffer_gl1_inv
	buffer_gl0_inv
	v_cmp_eq_u64_e32 vcc_lo, v[10:11], v[12:13]
	s_or_b32 s7, vcc_lo, s7
	s_andn2_b32 exec_lo, exec_lo, s7
	s_cbranch_execnz .LBB3_1265
; %bb.1266:
	s_or_b32 exec_lo, exec_lo, s7
.LBB3_1267:
	s_or_b32 exec_lo, exec_lo, s6
.LBB3_1268:
	s_or_b32 exec_lo, exec_lo, s5
	s_waitcnt vmcnt(0)
	v_mov_b32_e32 v9, 0
	v_readfirstlane_b32 s6, v10
	v_readfirstlane_b32 s7, v11
	s_mov_b32 s5, exec_lo
	s_clause 0x1
	global_load_dwordx2 v[12:13], v9, s[38:39] offset:40
	global_load_dwordx4 v[0:3], v9, s[38:39]
	s_waitcnt vmcnt(1)
	v_readfirstlane_b32 s10, v12
	v_readfirstlane_b32 s11, v13
	s_and_b64 s[10:11], s[6:7], s[10:11]
	s_mul_i32 s16, s11, 24
	s_mul_hi_u32 s17, s10, 24
	s_mul_i32 s18, s10, 24
	s_add_i32 s17, s17, s16
	s_waitcnt vmcnt(0)
	v_add_co_u32 v10, vcc_lo, v0, s18
	v_add_co_ci_u32_e32 v11, vcc_lo, s17, v1, vcc_lo
	s_and_saveexec_b32 s16, s4
	s_cbranch_execz .LBB3_1270
; %bb.1269:
	v_mov_b32_e32 v8, s5
	v_mov_b32_e32 v13, v9
	;; [unrolled: 1-line block ×5, first 2 shown]
	global_store_dwordx4 v[10:11], v[12:15], off offset:8
.LBB3_1270:
	s_or_b32 exec_lo, exec_lo, s16
	s_lshl_b64 s[10:11], s[10:11], 12
	s_mov_b32 s16, 0
	v_add_co_u32 v2, vcc_lo, v2, s10
	v_add_co_ci_u32_e32 v3, vcc_lo, s11, v3, vcc_lo
	s_mov_b32 s17, s16
	s_mov_b32 s18, s16
	;; [unrolled: 1-line block ×3, first 2 shown]
	v_and_or_b32 v6, 0xffffff1d, v6, 34
	v_mov_b32_e32 v8, 10
	v_readfirstlane_b32 s10, v2
	v_readfirstlane_b32 s11, v3
	v_mov_b32_e32 v12, s16
	v_mov_b32_e32 v13, s17
	v_mov_b32_e32 v14, s18
	v_mov_b32_e32 v15, s19
	global_store_dwordx4 v50, v[6:9], s[10:11]
	global_store_dwordx4 v50, v[12:15], s[10:11] offset:16
	global_store_dwordx4 v50, v[12:15], s[10:11] offset:32
	;; [unrolled: 1-line block ×3, first 2 shown]
	s_and_saveexec_b32 s5, s4
	s_cbranch_execz .LBB3_1278
; %bb.1271:
	v_mov_b32_e32 v8, 0
	v_mov_b32_e32 v12, s6
	;; [unrolled: 1-line block ×3, first 2 shown]
	s_clause 0x1
	global_load_dwordx2 v[14:15], v8, s[38:39] offset:32 glc dlc
	global_load_dwordx2 v[2:3], v8, s[38:39] offset:40
	s_waitcnt vmcnt(0)
	v_readfirstlane_b32 s10, v2
	v_readfirstlane_b32 s11, v3
	s_and_b64 s[10:11], s[10:11], s[6:7]
	s_mul_i32 s11, s11, 24
	s_mul_hi_u32 s16, s10, 24
	s_mul_i32 s10, s10, 24
	s_add_i32 s16, s16, s11
	v_add_co_u32 v6, vcc_lo, v0, s10
	v_add_co_ci_u32_e32 v7, vcc_lo, s16, v1, vcc_lo
	s_mov_b32 s10, exec_lo
	global_store_dwordx2 v[6:7], v[14:15], off
	s_waitcnt_vscnt null, 0x0
	global_atomic_cmpswap_x2 v[2:3], v8, v[12:15], s[38:39] offset:32 glc
	s_waitcnt vmcnt(0)
	v_cmpx_ne_u64_e64 v[2:3], v[14:15]
	s_cbranch_execz .LBB3_1274
; %bb.1272:
	s_mov_b32 s11, 0
.LBB3_1273:                             ; =>This Inner Loop Header: Depth=1
	v_mov_b32_e32 v0, s6
	v_mov_b32_e32 v1, s7
	s_sleep 1
	global_store_dwordx2 v[6:7], v[2:3], off
	s_waitcnt_vscnt null, 0x0
	global_atomic_cmpswap_x2 v[0:1], v8, v[0:3], s[38:39] offset:32 glc
	s_waitcnt vmcnt(0)
	v_cmp_eq_u64_e32 vcc_lo, v[0:1], v[2:3]
	v_mov_b32_e32 v3, v1
	v_mov_b32_e32 v2, v0
	s_or_b32 s11, vcc_lo, s11
	s_andn2_b32 exec_lo, exec_lo, s11
	s_cbranch_execnz .LBB3_1273
.LBB3_1274:
	s_or_b32 exec_lo, exec_lo, s10
	v_mov_b32_e32 v3, 0
	s_mov_b32 s11, exec_lo
	s_mov_b32 s10, exec_lo
	v_mbcnt_lo_u32_b32 v2, s11, 0
	global_load_dwordx2 v[0:1], v3, s[38:39] offset:16
	v_cmpx_eq_u32_e32 0, v2
	s_cbranch_execz .LBB3_1276
; %bb.1275:
	s_bcnt1_i32_b32 s11, s11
	v_mov_b32_e32 v2, s11
	s_waitcnt vmcnt(0)
	global_atomic_add_x2 v[0:1], v[2:3], off offset:8
.LBB3_1276:
	s_or_b32 exec_lo, exec_lo, s10
	s_waitcnt vmcnt(0)
	global_load_dwordx2 v[2:3], v[0:1], off offset:16
	s_waitcnt vmcnt(0)
	v_cmp_eq_u64_e32 vcc_lo, 0, v[2:3]
	s_cbranch_vccnz .LBB3_1278
; %bb.1277:
	global_load_dword v0, v[0:1], off offset:24
	v_mov_b32_e32 v1, 0
	s_waitcnt vmcnt(0)
	v_and_b32_e32 v6, 0x7fffff, v0
	s_waitcnt_vscnt null, 0x0
	global_store_dwordx2 v[2:3], v[0:1], off
	v_readfirstlane_b32 m0, v6
	s_sendmsg sendmsg(MSG_INTERRUPT)
.LBB3_1278:
	s_or_b32 exec_lo, exec_lo, s5
	s_branch .LBB3_1282
	.p2align	6
.LBB3_1279:                             ;   in Loop: Header=BB3_1282 Depth=1
	s_or_b32 exec_lo, exec_lo, s5
	v_readfirstlane_b32 s5, v0
	s_cmp_eq_u32 s5, 0
	s_cbranch_scc1 .LBB3_1281
; %bb.1280:                             ;   in Loop: Header=BB3_1282 Depth=1
	s_sleep 1
	s_cbranch_execnz .LBB3_1282
	s_branch .LBB3_1284
	.p2align	6
.LBB3_1281:
	s_branch .LBB3_1284
.LBB3_1282:                             ; =>This Inner Loop Header: Depth=1
	v_mov_b32_e32 v0, 1
	s_and_saveexec_b32 s5, s4
	s_cbranch_execz .LBB3_1279
; %bb.1283:                             ;   in Loop: Header=BB3_1282 Depth=1
	global_load_dword v0, v[10:11], off offset:20 glc dlc
	s_waitcnt vmcnt(0)
	buffer_gl1_inv
	buffer_gl0_inv
	v_and_b32_e32 v0, 1, v0
	s_branch .LBB3_1279
.LBB3_1284:
	s_and_saveexec_b32 s5, s4
	s_cbranch_execz .LBB3_1288
; %bb.1285:
	v_mov_b32_e32 v8, 0
	s_clause 0x2
	global_load_dwordx2 v[2:3], v8, s[38:39] offset:40
	global_load_dwordx2 v[9:10], v8, s[38:39] offset:24 glc dlc
	global_load_dwordx2 v[6:7], v8, s[38:39]
	s_waitcnt vmcnt(2)
	v_add_co_u32 v11, vcc_lo, v2, 1
	v_add_co_ci_u32_e32 v12, vcc_lo, 0, v3, vcc_lo
	v_add_co_u32 v0, vcc_lo, v11, s6
	v_add_co_ci_u32_e32 v1, vcc_lo, s7, v12, vcc_lo
	v_cmp_eq_u64_e32 vcc_lo, 0, v[0:1]
	v_cndmask_b32_e32 v1, v1, v12, vcc_lo
	v_cndmask_b32_e32 v0, v0, v11, vcc_lo
	v_and_b32_e32 v3, v1, v3
	v_and_b32_e32 v2, v0, v2
	v_mul_lo_u32 v3, v3, 24
	v_mul_hi_u32 v11, v2, 24
	v_mul_lo_u32 v2, v2, 24
	v_add_nc_u32_e32 v3, v11, v3
	s_waitcnt vmcnt(0)
	v_add_co_u32 v6, vcc_lo, v6, v2
	v_mov_b32_e32 v2, v9
	v_add_co_ci_u32_e32 v7, vcc_lo, v7, v3, vcc_lo
	v_mov_b32_e32 v3, v10
	global_store_dwordx2 v[6:7], v[9:10], off
	s_waitcnt_vscnt null, 0x0
	global_atomic_cmpswap_x2 v[2:3], v8, v[0:3], s[38:39] offset:24 glc
	s_waitcnt vmcnt(0)
	v_cmp_ne_u64_e32 vcc_lo, v[2:3], v[9:10]
	s_and_b32 exec_lo, exec_lo, vcc_lo
	s_cbranch_execz .LBB3_1288
; %bb.1286:
	s_mov_b32 s4, 0
.LBB3_1287:                             ; =>This Inner Loop Header: Depth=1
	s_sleep 1
	global_store_dwordx2 v[6:7], v[2:3], off
	s_waitcnt_vscnt null, 0x0
	global_atomic_cmpswap_x2 v[9:10], v8, v[0:3], s[38:39] offset:24 glc
	s_waitcnt vmcnt(0)
	v_cmp_eq_u64_e32 vcc_lo, v[9:10], v[2:3]
	v_mov_b32_e32 v2, v9
	v_mov_b32_e32 v3, v10
	s_or_b32 s4, vcc_lo, s4
	s_andn2_b32 exec_lo, exec_lo, s4
	s_cbranch_execnz .LBB3_1287
.LBB3_1288:
	s_or_b32 exec_lo, exec_lo, s5
	v_readfirstlane_b32 s4, v51
	v_mov_b32_e32 v8, 0
	v_mov_b32_e32 v9, 0
	v_cmp_eq_u32_e64 s4, s4, v51
	s_and_saveexec_b32 s5, s4
	s_cbranch_execz .LBB3_1294
; %bb.1289:
	v_mov_b32_e32 v0, 0
	s_mov_b32 s6, exec_lo
	global_load_dwordx2 v[10:11], v0, s[38:39] offset:24 glc dlc
	s_waitcnt vmcnt(0)
	buffer_gl1_inv
	buffer_gl0_inv
	s_clause 0x1
	global_load_dwordx2 v[1:2], v0, s[38:39] offset:40
	global_load_dwordx2 v[6:7], v0, s[38:39]
	s_waitcnt vmcnt(1)
	v_and_b32_e32 v2, v2, v11
	v_and_b32_e32 v1, v1, v10
	v_mul_lo_u32 v2, v2, 24
	v_mul_hi_u32 v3, v1, 24
	v_mul_lo_u32 v1, v1, 24
	v_add_nc_u32_e32 v2, v3, v2
	s_waitcnt vmcnt(0)
	v_add_co_u32 v1, vcc_lo, v6, v1
	v_add_co_ci_u32_e32 v2, vcc_lo, v7, v2, vcc_lo
	global_load_dwordx2 v[8:9], v[1:2], off glc dlc
	s_waitcnt vmcnt(0)
	global_atomic_cmpswap_x2 v[8:9], v0, v[8:11], s[38:39] offset:24 glc
	s_waitcnt vmcnt(0)
	buffer_gl1_inv
	buffer_gl0_inv
	v_cmpx_ne_u64_e64 v[8:9], v[10:11]
	s_cbranch_execz .LBB3_1293
; %bb.1290:
	s_mov_b32 s7, 0
	.p2align	6
.LBB3_1291:                             ; =>This Inner Loop Header: Depth=1
	s_sleep 1
	s_clause 0x1
	global_load_dwordx2 v[1:2], v0, s[38:39] offset:40
	global_load_dwordx2 v[6:7], v0, s[38:39]
	v_mov_b32_e32 v11, v9
	v_mov_b32_e32 v10, v8
	s_waitcnt vmcnt(1)
	v_and_b32_e32 v1, v1, v10
	v_and_b32_e32 v2, v2, v11
	s_waitcnt vmcnt(0)
	v_mad_u64_u32 v[6:7], null, v1, 24, v[6:7]
	v_mov_b32_e32 v1, v7
	v_mad_u64_u32 v[1:2], null, v2, 24, v[1:2]
	v_mov_b32_e32 v7, v1
	global_load_dwordx2 v[8:9], v[6:7], off glc dlc
	s_waitcnt vmcnt(0)
	global_atomic_cmpswap_x2 v[8:9], v0, v[8:11], s[38:39] offset:24 glc
	s_waitcnt vmcnt(0)
	buffer_gl1_inv
	buffer_gl0_inv
	v_cmp_eq_u64_e32 vcc_lo, v[8:9], v[10:11]
	s_or_b32 s7, vcc_lo, s7
	s_andn2_b32 exec_lo, exec_lo, s7
	s_cbranch_execnz .LBB3_1291
; %bb.1292:
	s_or_b32 exec_lo, exec_lo, s7
.LBB3_1293:
	s_or_b32 exec_lo, exec_lo, s6
.LBB3_1294:
	s_or_b32 exec_lo, exec_lo, s5
	v_mov_b32_e32 v7, 0
	v_readfirstlane_b32 s6, v8
	v_readfirstlane_b32 s7, v9
	s_mov_b32 s5, exec_lo
	s_clause 0x1
	global_load_dwordx2 v[10:11], v7, s[38:39] offset:40
	global_load_dwordx4 v[0:3], v7, s[38:39]
	s_waitcnt vmcnt(1)
	v_readfirstlane_b32 s10, v10
	v_readfirstlane_b32 s11, v11
	s_and_b64 s[10:11], s[6:7], s[10:11]
	s_mul_i32 s16, s11, 24
	s_mul_hi_u32 s17, s10, 24
	s_mul_i32 s18, s10, 24
	s_add_i32 s17, s17, s16
	s_waitcnt vmcnt(0)
	v_add_co_u32 v10, vcc_lo, v0, s18
	v_add_co_ci_u32_e32 v11, vcc_lo, s17, v1, vcc_lo
	s_and_saveexec_b32 s16, s4
	s_cbranch_execz .LBB3_1296
; %bb.1295:
	v_mov_b32_e32 v6, s5
	v_mov_b32_e32 v8, 2
	;; [unrolled: 1-line block ×3, first 2 shown]
	global_store_dwordx4 v[10:11], v[6:9], off offset:8
.LBB3_1296:
	s_or_b32 exec_lo, exec_lo, s16
	s_lshl_b64 s[10:11], s[10:11], 12
	s_mov_b32 s16, 0
	v_add_co_u32 v2, vcc_lo, v2, s10
	v_add_co_ci_u32_e32 v3, vcc_lo, s11, v3, vcc_lo
	s_mov_b32 s17, s16
	v_add_co_u32 v12, vcc_lo, v2, v50
	s_mov_b32 s18, s16
	s_mov_b32 s19, s16
	v_mov_b32_e32 v6, 33
	v_mov_b32_e32 v8, v7
	;; [unrolled: 1-line block ×3, first 2 shown]
	v_readfirstlane_b32 s10, v2
	v_readfirstlane_b32 s11, v3
	v_mov_b32_e32 v14, s16
	v_add_co_ci_u32_e32 v13, vcc_lo, 0, v3, vcc_lo
	v_mov_b32_e32 v15, s17
	v_mov_b32_e32 v16, s18
	;; [unrolled: 1-line block ×3, first 2 shown]
	global_store_dwordx4 v50, v[6:9], s[10:11]
	global_store_dwordx4 v50, v[14:17], s[10:11] offset:16
	global_store_dwordx4 v50, v[14:17], s[10:11] offset:32
	;; [unrolled: 1-line block ×3, first 2 shown]
	s_and_saveexec_b32 s5, s4
	s_cbranch_execz .LBB3_1304
; %bb.1297:
	v_mov_b32_e32 v8, 0
	v_mov_b32_e32 v14, s6
	;; [unrolled: 1-line block ×3, first 2 shown]
	s_clause 0x1
	global_load_dwordx2 v[16:17], v8, s[38:39] offset:32 glc dlc
	global_load_dwordx2 v[2:3], v8, s[38:39] offset:40
	s_waitcnt vmcnt(0)
	v_readfirstlane_b32 s10, v2
	v_readfirstlane_b32 s11, v3
	s_and_b64 s[10:11], s[10:11], s[6:7]
	s_mul_i32 s11, s11, 24
	s_mul_hi_u32 s16, s10, 24
	s_mul_i32 s10, s10, 24
	s_add_i32 s16, s16, s11
	v_add_co_u32 v6, vcc_lo, v0, s10
	v_add_co_ci_u32_e32 v7, vcc_lo, s16, v1, vcc_lo
	s_mov_b32 s10, exec_lo
	global_store_dwordx2 v[6:7], v[16:17], off
	s_waitcnt_vscnt null, 0x0
	global_atomic_cmpswap_x2 v[2:3], v8, v[14:17], s[38:39] offset:32 glc
	s_waitcnt vmcnt(0)
	v_cmpx_ne_u64_e64 v[2:3], v[16:17]
	s_cbranch_execz .LBB3_1300
; %bb.1298:
	s_mov_b32 s11, 0
.LBB3_1299:                             ; =>This Inner Loop Header: Depth=1
	v_mov_b32_e32 v0, s6
	v_mov_b32_e32 v1, s7
	s_sleep 1
	global_store_dwordx2 v[6:7], v[2:3], off
	s_waitcnt_vscnt null, 0x0
	global_atomic_cmpswap_x2 v[0:1], v8, v[0:3], s[38:39] offset:32 glc
	s_waitcnt vmcnt(0)
	v_cmp_eq_u64_e32 vcc_lo, v[0:1], v[2:3]
	v_mov_b32_e32 v3, v1
	v_mov_b32_e32 v2, v0
	s_or_b32 s11, vcc_lo, s11
	s_andn2_b32 exec_lo, exec_lo, s11
	s_cbranch_execnz .LBB3_1299
.LBB3_1300:
	s_or_b32 exec_lo, exec_lo, s10
	v_mov_b32_e32 v3, 0
	s_mov_b32 s11, exec_lo
	s_mov_b32 s10, exec_lo
	v_mbcnt_lo_u32_b32 v2, s11, 0
	global_load_dwordx2 v[0:1], v3, s[38:39] offset:16
	v_cmpx_eq_u32_e32 0, v2
	s_cbranch_execz .LBB3_1302
; %bb.1301:
	s_bcnt1_i32_b32 s11, s11
	v_mov_b32_e32 v2, s11
	s_waitcnt vmcnt(0)
	global_atomic_add_x2 v[0:1], v[2:3], off offset:8
.LBB3_1302:
	s_or_b32 exec_lo, exec_lo, s10
	s_waitcnt vmcnt(0)
	global_load_dwordx2 v[2:3], v[0:1], off offset:16
	s_waitcnt vmcnt(0)
	v_cmp_eq_u64_e32 vcc_lo, 0, v[2:3]
	s_cbranch_vccnz .LBB3_1304
; %bb.1303:
	global_load_dword v0, v[0:1], off offset:24
	v_mov_b32_e32 v1, 0
	s_waitcnt vmcnt(0)
	v_and_b32_e32 v6, 0x7fffff, v0
	s_waitcnt_vscnt null, 0x0
	global_store_dwordx2 v[2:3], v[0:1], off
	v_readfirstlane_b32 m0, v6
	s_sendmsg sendmsg(MSG_INTERRUPT)
.LBB3_1304:
	s_or_b32 exec_lo, exec_lo, s5
	s_branch .LBB3_1308
	.p2align	6
.LBB3_1305:                             ;   in Loop: Header=BB3_1308 Depth=1
	s_or_b32 exec_lo, exec_lo, s5
	v_readfirstlane_b32 s5, v0
	s_cmp_eq_u32 s5, 0
	s_cbranch_scc1 .LBB3_1307
; %bb.1306:                             ;   in Loop: Header=BB3_1308 Depth=1
	s_sleep 1
	s_cbranch_execnz .LBB3_1308
	s_branch .LBB3_1310
	.p2align	6
.LBB3_1307:
	s_branch .LBB3_1310
.LBB3_1308:                             ; =>This Inner Loop Header: Depth=1
	v_mov_b32_e32 v0, 1
	s_and_saveexec_b32 s5, s4
	s_cbranch_execz .LBB3_1305
; %bb.1309:                             ;   in Loop: Header=BB3_1308 Depth=1
	global_load_dword v0, v[10:11], off offset:20 glc dlc
	s_waitcnt vmcnt(0)
	buffer_gl1_inv
	buffer_gl0_inv
	v_and_b32_e32 v0, 1, v0
	s_branch .LBB3_1305
.LBB3_1310:
	global_load_dwordx2 v[6:7], v[12:13], off
	s_and_saveexec_b32 s5, s4
	s_cbranch_execz .LBB3_1314
; %bb.1311:
	v_mov_b32_e32 v10, 0
	s_clause 0x2
	global_load_dwordx2 v[2:3], v10, s[38:39] offset:40
	global_load_dwordx2 v[11:12], v10, s[38:39] offset:24 glc dlc
	global_load_dwordx2 v[8:9], v10, s[38:39]
	s_waitcnt vmcnt(2)
	v_add_co_u32 v13, vcc_lo, v2, 1
	v_add_co_ci_u32_e32 v14, vcc_lo, 0, v3, vcc_lo
	v_add_co_u32 v0, vcc_lo, v13, s6
	v_add_co_ci_u32_e32 v1, vcc_lo, s7, v14, vcc_lo
	v_cmp_eq_u64_e32 vcc_lo, 0, v[0:1]
	v_cndmask_b32_e32 v1, v1, v14, vcc_lo
	v_cndmask_b32_e32 v0, v0, v13, vcc_lo
	v_and_b32_e32 v3, v1, v3
	v_and_b32_e32 v2, v0, v2
	v_mul_lo_u32 v3, v3, 24
	v_mul_hi_u32 v13, v2, 24
	v_mul_lo_u32 v2, v2, 24
	v_add_nc_u32_e32 v3, v13, v3
	s_waitcnt vmcnt(0)
	v_add_co_u32 v8, vcc_lo, v8, v2
	v_mov_b32_e32 v2, v11
	v_add_co_ci_u32_e32 v9, vcc_lo, v9, v3, vcc_lo
	v_mov_b32_e32 v3, v12
	global_store_dwordx2 v[8:9], v[11:12], off
	s_waitcnt_vscnt null, 0x0
	global_atomic_cmpswap_x2 v[2:3], v10, v[0:3], s[38:39] offset:24 glc
	s_waitcnt vmcnt(0)
	v_cmp_ne_u64_e32 vcc_lo, v[2:3], v[11:12]
	s_and_b32 exec_lo, exec_lo, vcc_lo
	s_cbranch_execz .LBB3_1314
; %bb.1312:
	s_mov_b32 s4, 0
.LBB3_1313:                             ; =>This Inner Loop Header: Depth=1
	s_sleep 1
	global_store_dwordx2 v[8:9], v[2:3], off
	s_waitcnt_vscnt null, 0x0
	global_atomic_cmpswap_x2 v[11:12], v10, v[0:3], s[38:39] offset:24 glc
	s_waitcnt vmcnt(0)
	v_cmp_eq_u64_e32 vcc_lo, v[11:12], v[2:3]
	v_mov_b32_e32 v2, v11
	v_mov_b32_e32 v3, v12
	s_or_b32 s4, vcc_lo, s4
	s_andn2_b32 exec_lo, exec_lo, s4
	s_cbranch_execnz .LBB3_1313
.LBB3_1314:
	s_or_b32 exec_lo, exec_lo, s5
	s_and_b32 vcc_lo, exec_lo, s15
	s_cbranch_vccz .LBB3_1393
; %bb.1315:
	s_waitcnt vmcnt(0)
	v_and_b32_e32 v30, 2, v6
	v_mov_b32_e32 v9, 0
	v_and_b32_e32 v0, -3, v6
	v_mov_b32_e32 v1, v7
	v_mov_b32_e32 v10, 2
	v_mov_b32_e32 v11, 1
	s_mov_b64 s[10:11], 3
	s_getpc_b64 s[6:7]
	s_add_u32 s6, s6, .str.8@rel32@lo+4
	s_addc_u32 s7, s7, .str.8@rel32@hi+12
	s_branch .LBB3_1317
.LBB3_1316:                             ;   in Loop: Header=BB3_1317 Depth=1
	s_or_b32 exec_lo, exec_lo, s5
	s_sub_u32 s10, s10, s16
	s_subb_u32 s11, s11, s17
	s_add_u32 s6, s6, s16
	s_addc_u32 s7, s7, s17
	s_cmp_lg_u64 s[10:11], 0
	s_cbranch_scc0 .LBB3_1392
.LBB3_1317:                             ; =>This Loop Header: Depth=1
                                        ;     Child Loop BB3_1326 Depth 2
                                        ;     Child Loop BB3_1322 Depth 2
	;; [unrolled: 1-line block ×11, first 2 shown]
	v_cmp_lt_u64_e64 s4, s[10:11], 56
	v_cmp_gt_u64_e64 s5, s[10:11], 7
                                        ; implicit-def: $vgpr2_vgpr3
                                        ; implicit-def: $sgpr15
	s_and_b32 s4, s4, exec_lo
	s_cselect_b32 s17, s11, 0
	s_cselect_b32 s16, s10, 56
	s_and_b32 vcc_lo, exec_lo, s5
	s_mov_b32 s4, -1
	s_cbranch_vccz .LBB3_1324
; %bb.1318:                             ;   in Loop: Header=BB3_1317 Depth=1
	s_andn2_b32 vcc_lo, exec_lo, s4
	s_mov_b64 s[4:5], s[6:7]
	s_cbranch_vccz .LBB3_1328
.LBB3_1319:                             ;   in Loop: Header=BB3_1317 Depth=1
	s_cmp_gt_u32 s15, 7
	s_cbranch_scc1 .LBB3_1329
.LBB3_1320:                             ;   in Loop: Header=BB3_1317 Depth=1
	v_mov_b32_e32 v12, 0
	v_mov_b32_e32 v13, 0
	s_cmp_eq_u32 s15, 0
	s_cbranch_scc1 .LBB3_1323
; %bb.1321:                             ;   in Loop: Header=BB3_1317 Depth=1
	s_mov_b64 s[18:19], 0
	s_mov_b64 s[20:21], 0
.LBB3_1322:                             ;   Parent Loop BB3_1317 Depth=1
                                        ; =>  This Inner Loop Header: Depth=2
	s_add_u32 s22, s4, s20
	s_addc_u32 s23, s5, s21
	s_add_u32 s20, s20, 1
	global_load_ubyte v8, v9, s[22:23]
	s_addc_u32 s21, s21, 0
	s_waitcnt vmcnt(0)
	v_and_b32_e32 v8, 0xffff, v8
	v_lshlrev_b64 v[14:15], s18, v[8:9]
	s_add_u32 s18, s18, 8
	s_addc_u32 s19, s19, 0
	s_cmp_lg_u32 s15, s20
	v_or_b32_e32 v12, v14, v12
	v_or_b32_e32 v13, v15, v13
	s_cbranch_scc1 .LBB3_1322
.LBB3_1323:                             ;   in Loop: Header=BB3_1317 Depth=1
	s_mov_b32 s22, 0
	s_cbranch_execz .LBB3_1330
	s_branch .LBB3_1331
.LBB3_1324:                             ;   in Loop: Header=BB3_1317 Depth=1
	s_waitcnt vmcnt(0)
	v_mov_b32_e32 v2, 0
	v_mov_b32_e32 v3, 0
	s_cmp_eq_u64 s[10:11], 0
	s_mov_b64 s[4:5], 0
	s_cbranch_scc1 .LBB3_1327
; %bb.1325:                             ;   in Loop: Header=BB3_1317 Depth=1
	v_mov_b32_e32 v2, 0
	v_mov_b32_e32 v3, 0
	s_lshl_b64 s[18:19], s[16:17], 3
	s_mov_b64 s[20:21], s[6:7]
.LBB3_1326:                             ;   Parent Loop BB3_1317 Depth=1
                                        ; =>  This Inner Loop Header: Depth=2
	global_load_ubyte v8, v9, s[20:21]
	s_waitcnt vmcnt(0)
	v_and_b32_e32 v8, 0xffff, v8
	v_lshlrev_b64 v[12:13], s4, v[8:9]
	s_add_u32 s4, s4, 8
	s_addc_u32 s5, s5, 0
	s_add_u32 s20, s20, 1
	s_addc_u32 s21, s21, 0
	s_cmp_lg_u32 s18, s4
	v_or_b32_e32 v2, v12, v2
	v_or_b32_e32 v3, v13, v3
	s_cbranch_scc1 .LBB3_1326
.LBB3_1327:                             ;   in Loop: Header=BB3_1317 Depth=1
	s_mov_b32 s15, 0
	s_mov_b64 s[4:5], s[6:7]
	s_cbranch_execnz .LBB3_1319
.LBB3_1328:                             ;   in Loop: Header=BB3_1317 Depth=1
	global_load_dwordx2 v[2:3], v9, s[6:7]
	s_add_i32 s15, s16, -8
	s_add_u32 s4, s6, 8
	s_addc_u32 s5, s7, 0
	s_cmp_gt_u32 s15, 7
	s_cbranch_scc0 .LBB3_1320
.LBB3_1329:                             ;   in Loop: Header=BB3_1317 Depth=1
                                        ; implicit-def: $vgpr12_vgpr13
                                        ; implicit-def: $sgpr22
.LBB3_1330:                             ;   in Loop: Header=BB3_1317 Depth=1
	global_load_dwordx2 v[12:13], v9, s[4:5]
	s_add_i32 s22, s15, -8
	s_add_u32 s4, s4, 8
	s_addc_u32 s5, s5, 0
.LBB3_1331:                             ;   in Loop: Header=BB3_1317 Depth=1
	s_cmp_gt_u32 s22, 7
	s_cbranch_scc1 .LBB3_1336
; %bb.1332:                             ;   in Loop: Header=BB3_1317 Depth=1
	v_mov_b32_e32 v14, 0
	v_mov_b32_e32 v15, 0
	s_cmp_eq_u32 s22, 0
	s_cbranch_scc1 .LBB3_1335
; %bb.1333:                             ;   in Loop: Header=BB3_1317 Depth=1
	s_mov_b64 s[18:19], 0
	s_mov_b64 s[20:21], 0
.LBB3_1334:                             ;   Parent Loop BB3_1317 Depth=1
                                        ; =>  This Inner Loop Header: Depth=2
	s_add_u32 s24, s4, s20
	s_addc_u32 s25, s5, s21
	s_add_u32 s20, s20, 1
	global_load_ubyte v8, v9, s[24:25]
	s_addc_u32 s21, s21, 0
	s_waitcnt vmcnt(0)
	v_and_b32_e32 v8, 0xffff, v8
	v_lshlrev_b64 v[16:17], s18, v[8:9]
	s_add_u32 s18, s18, 8
	s_addc_u32 s19, s19, 0
	s_cmp_lg_u32 s22, s20
	v_or_b32_e32 v14, v16, v14
	v_or_b32_e32 v15, v17, v15
	s_cbranch_scc1 .LBB3_1334
.LBB3_1335:                             ;   in Loop: Header=BB3_1317 Depth=1
	s_mov_b32 s15, 0
	s_cbranch_execz .LBB3_1337
	s_branch .LBB3_1338
.LBB3_1336:                             ;   in Loop: Header=BB3_1317 Depth=1
                                        ; implicit-def: $sgpr15
.LBB3_1337:                             ;   in Loop: Header=BB3_1317 Depth=1
	global_load_dwordx2 v[14:15], v9, s[4:5]
	s_add_i32 s15, s22, -8
	s_add_u32 s4, s4, 8
	s_addc_u32 s5, s5, 0
.LBB3_1338:                             ;   in Loop: Header=BB3_1317 Depth=1
	s_cmp_gt_u32 s15, 7
	s_cbranch_scc1 .LBB3_1343
; %bb.1339:                             ;   in Loop: Header=BB3_1317 Depth=1
	v_mov_b32_e32 v16, 0
	v_mov_b32_e32 v17, 0
	s_cmp_eq_u32 s15, 0
	s_cbranch_scc1 .LBB3_1342
; %bb.1340:                             ;   in Loop: Header=BB3_1317 Depth=1
	s_mov_b64 s[18:19], 0
	s_mov_b64 s[20:21], 0
.LBB3_1341:                             ;   Parent Loop BB3_1317 Depth=1
                                        ; =>  This Inner Loop Header: Depth=2
	s_add_u32 s22, s4, s20
	s_addc_u32 s23, s5, s21
	s_add_u32 s20, s20, 1
	global_load_ubyte v8, v9, s[22:23]
	s_addc_u32 s21, s21, 0
	s_waitcnt vmcnt(0)
	v_and_b32_e32 v8, 0xffff, v8
	v_lshlrev_b64 v[18:19], s18, v[8:9]
	s_add_u32 s18, s18, 8
	s_addc_u32 s19, s19, 0
	s_cmp_lg_u32 s15, s20
	v_or_b32_e32 v16, v18, v16
	v_or_b32_e32 v17, v19, v17
	s_cbranch_scc1 .LBB3_1341
.LBB3_1342:                             ;   in Loop: Header=BB3_1317 Depth=1
	s_mov_b32 s22, 0
	s_cbranch_execz .LBB3_1344
	s_branch .LBB3_1345
.LBB3_1343:                             ;   in Loop: Header=BB3_1317 Depth=1
                                        ; implicit-def: $vgpr16_vgpr17
                                        ; implicit-def: $sgpr22
.LBB3_1344:                             ;   in Loop: Header=BB3_1317 Depth=1
	global_load_dwordx2 v[16:17], v9, s[4:5]
	s_add_i32 s22, s15, -8
	s_add_u32 s4, s4, 8
	s_addc_u32 s5, s5, 0
.LBB3_1345:                             ;   in Loop: Header=BB3_1317 Depth=1
	s_cmp_gt_u32 s22, 7
	s_cbranch_scc1 .LBB3_1350
; %bb.1346:                             ;   in Loop: Header=BB3_1317 Depth=1
	v_mov_b32_e32 v18, 0
	v_mov_b32_e32 v19, 0
	s_cmp_eq_u32 s22, 0
	s_cbranch_scc1 .LBB3_1349
; %bb.1347:                             ;   in Loop: Header=BB3_1317 Depth=1
	s_mov_b64 s[18:19], 0
	s_mov_b64 s[20:21], 0
.LBB3_1348:                             ;   Parent Loop BB3_1317 Depth=1
                                        ; =>  This Inner Loop Header: Depth=2
	s_add_u32 s24, s4, s20
	s_addc_u32 s25, s5, s21
	s_add_u32 s20, s20, 1
	global_load_ubyte v8, v9, s[24:25]
	s_addc_u32 s21, s21, 0
	s_waitcnt vmcnt(0)
	v_and_b32_e32 v8, 0xffff, v8
	v_lshlrev_b64 v[20:21], s18, v[8:9]
	s_add_u32 s18, s18, 8
	s_addc_u32 s19, s19, 0
	s_cmp_lg_u32 s22, s20
	v_or_b32_e32 v18, v20, v18
	v_or_b32_e32 v19, v21, v19
	s_cbranch_scc1 .LBB3_1348
.LBB3_1349:                             ;   in Loop: Header=BB3_1317 Depth=1
	s_mov_b32 s15, 0
	s_cbranch_execz .LBB3_1351
	s_branch .LBB3_1352
.LBB3_1350:                             ;   in Loop: Header=BB3_1317 Depth=1
                                        ; implicit-def: $sgpr15
.LBB3_1351:                             ;   in Loop: Header=BB3_1317 Depth=1
	global_load_dwordx2 v[18:19], v9, s[4:5]
	s_add_i32 s15, s22, -8
	s_add_u32 s4, s4, 8
	s_addc_u32 s5, s5, 0
.LBB3_1352:                             ;   in Loop: Header=BB3_1317 Depth=1
	s_cmp_gt_u32 s15, 7
	s_cbranch_scc1 .LBB3_1357
; %bb.1353:                             ;   in Loop: Header=BB3_1317 Depth=1
	v_mov_b32_e32 v20, 0
	v_mov_b32_e32 v21, 0
	s_cmp_eq_u32 s15, 0
	s_cbranch_scc1 .LBB3_1356
; %bb.1354:                             ;   in Loop: Header=BB3_1317 Depth=1
	s_mov_b64 s[18:19], 0
	s_mov_b64 s[20:21], 0
.LBB3_1355:                             ;   Parent Loop BB3_1317 Depth=1
                                        ; =>  This Inner Loop Header: Depth=2
	s_add_u32 s22, s4, s20
	s_addc_u32 s23, s5, s21
	s_add_u32 s20, s20, 1
	global_load_ubyte v8, v9, s[22:23]
	s_addc_u32 s21, s21, 0
	s_waitcnt vmcnt(0)
	v_and_b32_e32 v8, 0xffff, v8
	v_lshlrev_b64 v[22:23], s18, v[8:9]
	s_add_u32 s18, s18, 8
	s_addc_u32 s19, s19, 0
	s_cmp_lg_u32 s15, s20
	v_or_b32_e32 v20, v22, v20
	v_or_b32_e32 v21, v23, v21
	s_cbranch_scc1 .LBB3_1355
.LBB3_1356:                             ;   in Loop: Header=BB3_1317 Depth=1
	s_mov_b32 s22, 0
	s_cbranch_execz .LBB3_1358
	s_branch .LBB3_1359
.LBB3_1357:                             ;   in Loop: Header=BB3_1317 Depth=1
                                        ; implicit-def: $vgpr20_vgpr21
                                        ; implicit-def: $sgpr22
.LBB3_1358:                             ;   in Loop: Header=BB3_1317 Depth=1
	global_load_dwordx2 v[20:21], v9, s[4:5]
	s_add_i32 s22, s15, -8
	s_add_u32 s4, s4, 8
	s_addc_u32 s5, s5, 0
.LBB3_1359:                             ;   in Loop: Header=BB3_1317 Depth=1
	s_cmp_gt_u32 s22, 7
	s_cbranch_scc1 .LBB3_1364
; %bb.1360:                             ;   in Loop: Header=BB3_1317 Depth=1
	v_mov_b32_e32 v22, 0
	v_mov_b32_e32 v23, 0
	s_cmp_eq_u32 s22, 0
	s_cbranch_scc1 .LBB3_1363
; %bb.1361:                             ;   in Loop: Header=BB3_1317 Depth=1
	s_mov_b64 s[18:19], 0
	s_mov_b64 s[20:21], s[4:5]
.LBB3_1362:                             ;   Parent Loop BB3_1317 Depth=1
                                        ; =>  This Inner Loop Header: Depth=2
	global_load_ubyte v8, v9, s[20:21]
	s_add_i32 s22, s22, -1
	s_waitcnt vmcnt(0)
	v_and_b32_e32 v8, 0xffff, v8
	v_lshlrev_b64 v[24:25], s18, v[8:9]
	s_add_u32 s18, s18, 8
	s_addc_u32 s19, s19, 0
	s_add_u32 s20, s20, 1
	s_addc_u32 s21, s21, 0
	s_cmp_lg_u32 s22, 0
	v_or_b32_e32 v22, v24, v22
	v_or_b32_e32 v23, v25, v23
	s_cbranch_scc1 .LBB3_1362
.LBB3_1363:                             ;   in Loop: Header=BB3_1317 Depth=1
	s_cbranch_execz .LBB3_1365
	s_branch .LBB3_1366
.LBB3_1364:                             ;   in Loop: Header=BB3_1317 Depth=1
.LBB3_1365:                             ;   in Loop: Header=BB3_1317 Depth=1
	global_load_dwordx2 v[22:23], v9, s[4:5]
.LBB3_1366:                             ;   in Loop: Header=BB3_1317 Depth=1
	v_readfirstlane_b32 s4, v51
	v_mov_b32_e32 v28, 0
	v_mov_b32_e32 v29, 0
	v_cmp_eq_u32_e64 s4, s4, v51
	s_and_saveexec_b32 s5, s4
	s_cbranch_execz .LBB3_1372
; %bb.1367:                             ;   in Loop: Header=BB3_1317 Depth=1
	global_load_dwordx2 v[26:27], v9, s[38:39] offset:24 glc dlc
	s_waitcnt vmcnt(0)
	buffer_gl1_inv
	buffer_gl0_inv
	s_clause 0x1
	global_load_dwordx2 v[24:25], v9, s[38:39] offset:40
	global_load_dwordx2 v[28:29], v9, s[38:39]
	s_mov_b32 s15, exec_lo
	s_waitcnt vmcnt(1)
	v_and_b32_e32 v8, v25, v27
	v_and_b32_e32 v24, v24, v26
	v_mul_lo_u32 v8, v8, 24
	v_mul_hi_u32 v25, v24, 24
	v_mul_lo_u32 v24, v24, 24
	v_add_nc_u32_e32 v8, v25, v8
	s_waitcnt vmcnt(0)
	v_add_co_u32 v24, vcc_lo, v28, v24
	v_add_co_ci_u32_e32 v25, vcc_lo, v29, v8, vcc_lo
	global_load_dwordx2 v[24:25], v[24:25], off glc dlc
	s_waitcnt vmcnt(0)
	global_atomic_cmpswap_x2 v[28:29], v9, v[24:27], s[38:39] offset:24 glc
	s_waitcnt vmcnt(0)
	buffer_gl1_inv
	buffer_gl0_inv
	v_cmpx_ne_u64_e64 v[28:29], v[26:27]
	s_cbranch_execz .LBB3_1371
; %bb.1368:                             ;   in Loop: Header=BB3_1317 Depth=1
	s_mov_b32 s18, 0
	.p2align	6
.LBB3_1369:                             ;   Parent Loop BB3_1317 Depth=1
                                        ; =>  This Inner Loop Header: Depth=2
	s_sleep 1
	s_clause 0x1
	global_load_dwordx2 v[24:25], v9, s[38:39] offset:40
	global_load_dwordx2 v[31:32], v9, s[38:39]
	v_mov_b32_e32 v26, v28
	v_mov_b32_e32 v27, v29
	s_waitcnt vmcnt(1)
	v_and_b32_e32 v8, v24, v26
	v_and_b32_e32 v24, v25, v27
	s_waitcnt vmcnt(0)
	v_mad_u64_u32 v[28:29], null, v8, 24, v[31:32]
	v_mov_b32_e32 v8, v29
	v_mad_u64_u32 v[24:25], null, v24, 24, v[8:9]
	v_mov_b32_e32 v29, v24
	global_load_dwordx2 v[24:25], v[28:29], off glc dlc
	s_waitcnt vmcnt(0)
	global_atomic_cmpswap_x2 v[28:29], v9, v[24:27], s[38:39] offset:24 glc
	s_waitcnt vmcnt(0)
	buffer_gl1_inv
	buffer_gl0_inv
	v_cmp_eq_u64_e32 vcc_lo, v[28:29], v[26:27]
	s_or_b32 s18, vcc_lo, s18
	s_andn2_b32 exec_lo, exec_lo, s18
	s_cbranch_execnz .LBB3_1369
; %bb.1370:                             ;   in Loop: Header=BB3_1317 Depth=1
	s_or_b32 exec_lo, exec_lo, s18
.LBB3_1371:                             ;   in Loop: Header=BB3_1317 Depth=1
	s_or_b32 exec_lo, exec_lo, s15
.LBB3_1372:                             ;   in Loop: Header=BB3_1317 Depth=1
	s_or_b32 exec_lo, exec_lo, s5
	s_clause 0x1
	global_load_dwordx2 v[31:32], v9, s[38:39] offset:40
	global_load_dwordx4 v[24:27], v9, s[38:39]
	v_readfirstlane_b32 s18, v28
	v_readfirstlane_b32 s19, v29
	s_mov_b32 s5, exec_lo
	s_waitcnt vmcnt(1)
	v_readfirstlane_b32 s20, v31
	v_readfirstlane_b32 s21, v32
	s_and_b64 s[20:21], s[18:19], s[20:21]
	s_mul_i32 s15, s21, 24
	s_mul_hi_u32 s22, s20, 24
	s_mul_i32 s23, s20, 24
	s_add_i32 s22, s22, s15
	s_waitcnt vmcnt(0)
	v_add_co_u32 v28, vcc_lo, v24, s23
	v_add_co_ci_u32_e32 v29, vcc_lo, s22, v25, vcc_lo
	s_and_saveexec_b32 s15, s4
	s_cbranch_execz .LBB3_1374
; %bb.1373:                             ;   in Loop: Header=BB3_1317 Depth=1
	v_mov_b32_e32 v8, s5
	global_store_dwordx4 v[28:29], v[8:11], off offset:8
.LBB3_1374:                             ;   in Loop: Header=BB3_1317 Depth=1
	s_or_b32 exec_lo, exec_lo, s15
	s_lshl_b64 s[20:21], s[20:21], 12
	v_cmp_gt_u64_e64 vcc_lo, s[10:11], 56
	v_or_b32_e32 v31, v0, v30
	v_add_co_u32 v26, s5, v26, s20
	v_add_co_ci_u32_e64 v27, s5, s21, v27, s5
	s_lshl_b32 s5, s16, 2
	v_or_b32_e32 v8, 0, v1
	v_cndmask_b32_e32 v0, v31, v0, vcc_lo
	s_add_i32 s5, s5, 28
	v_readfirstlane_b32 s20, v26
	s_and_b32 s5, s5, 0x1e0
	v_cndmask_b32_e32 v1, v8, v1, vcc_lo
	v_readfirstlane_b32 s21, v27
	v_and_or_b32 v0, 0xffffff1f, v0, s5
	global_store_dwordx4 v50, v[0:3], s[20:21]
	global_store_dwordx4 v50, v[12:15], s[20:21] offset:16
	global_store_dwordx4 v50, v[16:19], s[20:21] offset:32
	;; [unrolled: 1-line block ×3, first 2 shown]
	s_and_saveexec_b32 s5, s4
	s_cbranch_execz .LBB3_1382
; %bb.1375:                             ;   in Loop: Header=BB3_1317 Depth=1
	s_clause 0x1
	global_load_dwordx2 v[16:17], v9, s[38:39] offset:32 glc dlc
	global_load_dwordx2 v[0:1], v9, s[38:39] offset:40
	v_mov_b32_e32 v14, s18
	v_mov_b32_e32 v15, s19
	s_waitcnt vmcnt(0)
	v_readfirstlane_b32 s20, v0
	v_readfirstlane_b32 s21, v1
	s_and_b64 s[20:21], s[20:21], s[18:19]
	s_mul_i32 s15, s21, 24
	s_mul_hi_u32 s21, s20, 24
	s_mul_i32 s20, s20, 24
	s_add_i32 s21, s21, s15
	v_add_co_u32 v12, vcc_lo, v24, s20
	v_add_co_ci_u32_e32 v13, vcc_lo, s21, v25, vcc_lo
	s_mov_b32 s15, exec_lo
	global_store_dwordx2 v[12:13], v[16:17], off
	s_waitcnt_vscnt null, 0x0
	global_atomic_cmpswap_x2 v[2:3], v9, v[14:17], s[38:39] offset:32 glc
	s_waitcnt vmcnt(0)
	v_cmpx_ne_u64_e64 v[2:3], v[16:17]
	s_cbranch_execz .LBB3_1378
; %bb.1376:                             ;   in Loop: Header=BB3_1317 Depth=1
	s_mov_b32 s20, 0
.LBB3_1377:                             ;   Parent Loop BB3_1317 Depth=1
                                        ; =>  This Inner Loop Header: Depth=2
	v_mov_b32_e32 v0, s18
	v_mov_b32_e32 v1, s19
	s_sleep 1
	global_store_dwordx2 v[12:13], v[2:3], off
	s_waitcnt_vscnt null, 0x0
	global_atomic_cmpswap_x2 v[0:1], v9, v[0:3], s[38:39] offset:32 glc
	s_waitcnt vmcnt(0)
	v_cmp_eq_u64_e32 vcc_lo, v[0:1], v[2:3]
	v_mov_b32_e32 v3, v1
	v_mov_b32_e32 v2, v0
	s_or_b32 s20, vcc_lo, s20
	s_andn2_b32 exec_lo, exec_lo, s20
	s_cbranch_execnz .LBB3_1377
.LBB3_1378:                             ;   in Loop: Header=BB3_1317 Depth=1
	s_or_b32 exec_lo, exec_lo, s15
	global_load_dwordx2 v[0:1], v9, s[38:39] offset:16
	s_mov_b32 s20, exec_lo
	s_mov_b32 s15, exec_lo
	v_mbcnt_lo_u32_b32 v2, s20, 0
	v_cmpx_eq_u32_e32 0, v2
	s_cbranch_execz .LBB3_1380
; %bb.1379:                             ;   in Loop: Header=BB3_1317 Depth=1
	s_bcnt1_i32_b32 s20, s20
	v_mov_b32_e32 v8, s20
	s_waitcnt vmcnt(0)
	global_atomic_add_x2 v[0:1], v[8:9], off offset:8
.LBB3_1380:                             ;   in Loop: Header=BB3_1317 Depth=1
	s_or_b32 exec_lo, exec_lo, s15
	s_waitcnt vmcnt(0)
	global_load_dwordx2 v[2:3], v[0:1], off offset:16
	s_waitcnt vmcnt(0)
	v_cmp_eq_u64_e32 vcc_lo, 0, v[2:3]
	s_cbranch_vccnz .LBB3_1382
; %bb.1381:                             ;   in Loop: Header=BB3_1317 Depth=1
	global_load_dword v8, v[0:1], off offset:24
	s_waitcnt vmcnt(0)
	v_and_b32_e32 v0, 0x7fffff, v8
	s_waitcnt_vscnt null, 0x0
	global_store_dwordx2 v[2:3], v[8:9], off
	v_readfirstlane_b32 m0, v0
	s_sendmsg sendmsg(MSG_INTERRUPT)
.LBB3_1382:                             ;   in Loop: Header=BB3_1317 Depth=1
	s_or_b32 exec_lo, exec_lo, s5
	v_add_co_u32 v0, vcc_lo, v26, v50
	v_add_co_ci_u32_e32 v1, vcc_lo, 0, v27, vcc_lo
	s_branch .LBB3_1386
	.p2align	6
.LBB3_1383:                             ;   in Loop: Header=BB3_1386 Depth=2
	s_or_b32 exec_lo, exec_lo, s5
	v_readfirstlane_b32 s5, v2
	s_cmp_eq_u32 s5, 0
	s_cbranch_scc1 .LBB3_1385
; %bb.1384:                             ;   in Loop: Header=BB3_1386 Depth=2
	s_sleep 1
	s_cbranch_execnz .LBB3_1386
	s_branch .LBB3_1388
	.p2align	6
.LBB3_1385:                             ;   in Loop: Header=BB3_1317 Depth=1
	s_branch .LBB3_1388
.LBB3_1386:                             ;   Parent Loop BB3_1317 Depth=1
                                        ; =>  This Inner Loop Header: Depth=2
	v_mov_b32_e32 v2, 1
	s_and_saveexec_b32 s5, s4
	s_cbranch_execz .LBB3_1383
; %bb.1387:                             ;   in Loop: Header=BB3_1386 Depth=2
	global_load_dword v2, v[28:29], off offset:20 glc dlc
	s_waitcnt vmcnt(0)
	buffer_gl1_inv
	buffer_gl0_inv
	v_and_b32_e32 v2, 1, v2
	s_branch .LBB3_1383
.LBB3_1388:                             ;   in Loop: Header=BB3_1317 Depth=1
	global_load_dwordx4 v[0:3], v[0:1], off
	s_and_saveexec_b32 s5, s4
	s_cbranch_execz .LBB3_1316
; %bb.1389:                             ;   in Loop: Header=BB3_1317 Depth=1
	s_clause 0x2
	global_load_dwordx2 v[2:3], v9, s[38:39] offset:40
	global_load_dwordx2 v[16:17], v9, s[38:39] offset:24 glc dlc
	global_load_dwordx2 v[14:15], v9, s[38:39]
	s_waitcnt vmcnt(2)
	v_add_co_u32 v8, vcc_lo, v2, 1
	v_add_co_ci_u32_e32 v18, vcc_lo, 0, v3, vcc_lo
	v_add_co_u32 v12, vcc_lo, v8, s18
	v_add_co_ci_u32_e32 v13, vcc_lo, s19, v18, vcc_lo
	v_cmp_eq_u64_e32 vcc_lo, 0, v[12:13]
	v_cndmask_b32_e32 v13, v13, v18, vcc_lo
	v_cndmask_b32_e32 v12, v12, v8, vcc_lo
	v_and_b32_e32 v3, v13, v3
	v_and_b32_e32 v2, v12, v2
	v_mul_lo_u32 v3, v3, 24
	v_mul_hi_u32 v8, v2, 24
	v_mul_lo_u32 v2, v2, 24
	v_add_nc_u32_e32 v3, v8, v3
	s_waitcnt vmcnt(0)
	v_add_co_u32 v2, vcc_lo, v14, v2
	v_mov_b32_e32 v14, v16
	v_add_co_ci_u32_e32 v3, vcc_lo, v15, v3, vcc_lo
	v_mov_b32_e32 v15, v17
	global_store_dwordx2 v[2:3], v[16:17], off
	s_waitcnt_vscnt null, 0x0
	global_atomic_cmpswap_x2 v[14:15], v9, v[12:15], s[38:39] offset:24 glc
	s_waitcnt vmcnt(0)
	v_cmp_ne_u64_e32 vcc_lo, v[14:15], v[16:17]
	s_and_b32 exec_lo, exec_lo, vcc_lo
	s_cbranch_execz .LBB3_1316
; %bb.1390:                             ;   in Loop: Header=BB3_1317 Depth=1
	s_mov_b32 s4, 0
.LBB3_1391:                             ;   Parent Loop BB3_1317 Depth=1
                                        ; =>  This Inner Loop Header: Depth=2
	s_sleep 1
	global_store_dwordx2 v[2:3], v[14:15], off
	s_waitcnt_vscnt null, 0x0
	global_atomic_cmpswap_x2 v[16:17], v9, v[12:15], s[38:39] offset:24 glc
	s_waitcnt vmcnt(0)
	v_cmp_eq_u64_e32 vcc_lo, v[16:17], v[14:15]
	v_mov_b32_e32 v14, v16
	v_mov_b32_e32 v15, v17
	s_or_b32 s4, vcc_lo, s4
	s_andn2_b32 exec_lo, exec_lo, s4
	s_cbranch_execnz .LBB3_1391
	s_branch .LBB3_1316
.LBB3_1392:
	s_branch .LBB3_1421
.LBB3_1393:
                                        ; implicit-def: $vgpr0_vgpr1
	s_cbranch_execz .LBB3_1421
; %bb.1394:
	v_readfirstlane_b32 s4, v51
	v_mov_b32_e32 v9, 0
	v_mov_b32_e32 v10, 0
	v_cmp_eq_u32_e64 s4, s4, v51
	s_and_saveexec_b32 s5, s4
	s_cbranch_execz .LBB3_1400
; %bb.1395:
	s_waitcnt vmcnt(0)
	v_mov_b32_e32 v0, 0
	s_mov_b32 s6, exec_lo
	global_load_dwordx2 v[11:12], v0, s[38:39] offset:24 glc dlc
	s_waitcnt vmcnt(0)
	buffer_gl1_inv
	buffer_gl0_inv
	s_clause 0x1
	global_load_dwordx2 v[1:2], v0, s[38:39] offset:40
	global_load_dwordx2 v[8:9], v0, s[38:39]
	s_waitcnt vmcnt(1)
	v_and_b32_e32 v2, v2, v12
	v_and_b32_e32 v1, v1, v11
	v_mul_lo_u32 v2, v2, 24
	v_mul_hi_u32 v3, v1, 24
	v_mul_lo_u32 v1, v1, 24
	v_add_nc_u32_e32 v2, v3, v2
	s_waitcnt vmcnt(0)
	v_add_co_u32 v1, vcc_lo, v8, v1
	v_add_co_ci_u32_e32 v2, vcc_lo, v9, v2, vcc_lo
	global_load_dwordx2 v[9:10], v[1:2], off glc dlc
	s_waitcnt vmcnt(0)
	global_atomic_cmpswap_x2 v[9:10], v0, v[9:12], s[38:39] offset:24 glc
	s_waitcnt vmcnt(0)
	buffer_gl1_inv
	buffer_gl0_inv
	v_cmpx_ne_u64_e64 v[9:10], v[11:12]
	s_cbranch_execz .LBB3_1399
; %bb.1396:
	s_mov_b32 s7, 0
	.p2align	6
.LBB3_1397:                             ; =>This Inner Loop Header: Depth=1
	s_sleep 1
	s_clause 0x1
	global_load_dwordx2 v[1:2], v0, s[38:39] offset:40
	global_load_dwordx2 v[13:14], v0, s[38:39]
	v_mov_b32_e32 v12, v10
	v_mov_b32_e32 v11, v9
	s_waitcnt vmcnt(1)
	v_and_b32_e32 v1, v1, v11
	v_and_b32_e32 v2, v2, v12
	s_waitcnt vmcnt(0)
	v_mad_u64_u32 v[8:9], null, v1, 24, v[13:14]
	v_mov_b32_e32 v1, v9
	v_mad_u64_u32 v[1:2], null, v2, 24, v[1:2]
	v_mov_b32_e32 v9, v1
	global_load_dwordx2 v[9:10], v[8:9], off glc dlc
	s_waitcnt vmcnt(0)
	global_atomic_cmpswap_x2 v[9:10], v0, v[9:12], s[38:39] offset:24 glc
	s_waitcnt vmcnt(0)
	buffer_gl1_inv
	buffer_gl0_inv
	v_cmp_eq_u64_e32 vcc_lo, v[9:10], v[11:12]
	s_or_b32 s7, vcc_lo, s7
	s_andn2_b32 exec_lo, exec_lo, s7
	s_cbranch_execnz .LBB3_1397
; %bb.1398:
	s_or_b32 exec_lo, exec_lo, s7
.LBB3_1399:
	s_or_b32 exec_lo, exec_lo, s6
.LBB3_1400:
	s_or_b32 exec_lo, exec_lo, s5
	v_mov_b32_e32 v8, 0
	v_readfirstlane_b32 s6, v9
	v_readfirstlane_b32 s7, v10
	s_mov_b32 s5, exec_lo
	s_clause 0x1
	global_load_dwordx2 v[11:12], v8, s[38:39] offset:40
	global_load_dwordx4 v[0:3], v8, s[38:39]
	s_waitcnt vmcnt(1)
	v_readfirstlane_b32 s10, v11
	v_readfirstlane_b32 s11, v12
	s_and_b64 s[10:11], s[6:7], s[10:11]
	s_mul_i32 s15, s11, 24
	s_mul_hi_u32 s16, s10, 24
	s_mul_i32 s17, s10, 24
	s_add_i32 s16, s16, s15
	s_waitcnt vmcnt(0)
	v_add_co_u32 v10, vcc_lo, v0, s17
	v_add_co_ci_u32_e32 v11, vcc_lo, s16, v1, vcc_lo
	s_and_saveexec_b32 s15, s4
	s_cbranch_execz .LBB3_1402
; %bb.1401:
	v_mov_b32_e32 v12, s5
	v_mov_b32_e32 v13, v8
	;; [unrolled: 1-line block ×4, first 2 shown]
	global_store_dwordx4 v[10:11], v[12:15], off offset:8
.LBB3_1402:
	s_or_b32 exec_lo, exec_lo, s15
	s_lshl_b64 s[10:11], s[10:11], 12
	s_mov_b32 s16, 0
	v_add_co_u32 v2, vcc_lo, v2, s10
	v_add_co_ci_u32_e32 v3, vcc_lo, s11, v3, vcc_lo
	s_mov_b32 s17, s16
	v_add_co_u32 v12, vcc_lo, v2, v50
	s_mov_b32 s18, s16
	s_mov_b32 s19, s16
	v_and_or_b32 v6, 0xffffff1f, v6, 32
	v_mov_b32_e32 v9, v8
	v_readfirstlane_b32 s10, v2
	v_readfirstlane_b32 s11, v3
	v_mov_b32_e32 v14, s16
	v_add_co_ci_u32_e32 v13, vcc_lo, 0, v3, vcc_lo
	v_mov_b32_e32 v15, s17
	v_mov_b32_e32 v16, s18
	v_mov_b32_e32 v17, s19
	global_store_dwordx4 v50, v[6:9], s[10:11]
	global_store_dwordx4 v50, v[14:17], s[10:11] offset:16
	global_store_dwordx4 v50, v[14:17], s[10:11] offset:32
	;; [unrolled: 1-line block ×3, first 2 shown]
	s_and_saveexec_b32 s5, s4
	s_cbranch_execz .LBB3_1410
; %bb.1403:
	v_mov_b32_e32 v8, 0
	v_mov_b32_e32 v14, s6
	v_mov_b32_e32 v15, s7
	s_clause 0x1
	global_load_dwordx2 v[16:17], v8, s[38:39] offset:32 glc dlc
	global_load_dwordx2 v[2:3], v8, s[38:39] offset:40
	s_waitcnt vmcnt(0)
	v_readfirstlane_b32 s10, v2
	v_readfirstlane_b32 s11, v3
	s_and_b64 s[10:11], s[10:11], s[6:7]
	s_mul_i32 s11, s11, 24
	s_mul_hi_u32 s15, s10, 24
	s_mul_i32 s10, s10, 24
	s_add_i32 s15, s15, s11
	v_add_co_u32 v6, vcc_lo, v0, s10
	v_add_co_ci_u32_e32 v7, vcc_lo, s15, v1, vcc_lo
	s_mov_b32 s10, exec_lo
	global_store_dwordx2 v[6:7], v[16:17], off
	s_waitcnt_vscnt null, 0x0
	global_atomic_cmpswap_x2 v[2:3], v8, v[14:17], s[38:39] offset:32 glc
	s_waitcnt vmcnt(0)
	v_cmpx_ne_u64_e64 v[2:3], v[16:17]
	s_cbranch_execz .LBB3_1406
; %bb.1404:
	s_mov_b32 s11, 0
.LBB3_1405:                             ; =>This Inner Loop Header: Depth=1
	v_mov_b32_e32 v0, s6
	v_mov_b32_e32 v1, s7
	s_sleep 1
	global_store_dwordx2 v[6:7], v[2:3], off
	s_waitcnt_vscnt null, 0x0
	global_atomic_cmpswap_x2 v[0:1], v8, v[0:3], s[38:39] offset:32 glc
	s_waitcnt vmcnt(0)
	v_cmp_eq_u64_e32 vcc_lo, v[0:1], v[2:3]
	v_mov_b32_e32 v3, v1
	v_mov_b32_e32 v2, v0
	s_or_b32 s11, vcc_lo, s11
	s_andn2_b32 exec_lo, exec_lo, s11
	s_cbranch_execnz .LBB3_1405
.LBB3_1406:
	s_or_b32 exec_lo, exec_lo, s10
	v_mov_b32_e32 v3, 0
	s_mov_b32 s11, exec_lo
	s_mov_b32 s10, exec_lo
	v_mbcnt_lo_u32_b32 v2, s11, 0
	global_load_dwordx2 v[0:1], v3, s[38:39] offset:16
	v_cmpx_eq_u32_e32 0, v2
	s_cbranch_execz .LBB3_1408
; %bb.1407:
	s_bcnt1_i32_b32 s11, s11
	v_mov_b32_e32 v2, s11
	s_waitcnt vmcnt(0)
	global_atomic_add_x2 v[0:1], v[2:3], off offset:8
.LBB3_1408:
	s_or_b32 exec_lo, exec_lo, s10
	s_waitcnt vmcnt(0)
	global_load_dwordx2 v[2:3], v[0:1], off offset:16
	s_waitcnt vmcnt(0)
	v_cmp_eq_u64_e32 vcc_lo, 0, v[2:3]
	s_cbranch_vccnz .LBB3_1410
; %bb.1409:
	global_load_dword v0, v[0:1], off offset:24
	v_mov_b32_e32 v1, 0
	s_waitcnt vmcnt(0)
	v_and_b32_e32 v6, 0x7fffff, v0
	s_waitcnt_vscnt null, 0x0
	global_store_dwordx2 v[2:3], v[0:1], off
	v_readfirstlane_b32 m0, v6
	s_sendmsg sendmsg(MSG_INTERRUPT)
.LBB3_1410:
	s_or_b32 exec_lo, exec_lo, s5
	s_branch .LBB3_1414
	.p2align	6
.LBB3_1411:                             ;   in Loop: Header=BB3_1414 Depth=1
	s_or_b32 exec_lo, exec_lo, s5
	v_readfirstlane_b32 s5, v0
	s_cmp_eq_u32 s5, 0
	s_cbranch_scc1 .LBB3_1413
; %bb.1412:                             ;   in Loop: Header=BB3_1414 Depth=1
	s_sleep 1
	s_cbranch_execnz .LBB3_1414
	s_branch .LBB3_1416
	.p2align	6
.LBB3_1413:
	s_branch .LBB3_1416
.LBB3_1414:                             ; =>This Inner Loop Header: Depth=1
	v_mov_b32_e32 v0, 1
	s_and_saveexec_b32 s5, s4
	s_cbranch_execz .LBB3_1411
; %bb.1415:                             ;   in Loop: Header=BB3_1414 Depth=1
	global_load_dword v0, v[10:11], off offset:20 glc dlc
	s_waitcnt vmcnt(0)
	buffer_gl1_inv
	buffer_gl0_inv
	v_and_b32_e32 v0, 1, v0
	s_branch .LBB3_1411
.LBB3_1416:
	global_load_dwordx2 v[0:1], v[12:13], off
	s_and_saveexec_b32 s5, s4
	s_cbranch_execz .LBB3_1420
; %bb.1417:
	v_mov_b32_e32 v10, 0
	s_clause 0x2
	global_load_dwordx2 v[2:3], v10, s[38:39] offset:40
	global_load_dwordx2 v[11:12], v10, s[38:39] offset:24 glc dlc
	global_load_dwordx2 v[8:9], v10, s[38:39]
	s_waitcnt vmcnt(2)
	v_add_co_u32 v13, vcc_lo, v2, 1
	v_add_co_ci_u32_e32 v14, vcc_lo, 0, v3, vcc_lo
	v_add_co_u32 v6, vcc_lo, v13, s6
	v_add_co_ci_u32_e32 v7, vcc_lo, s7, v14, vcc_lo
	v_cmp_eq_u64_e32 vcc_lo, 0, v[6:7]
	v_cndmask_b32_e32 v7, v7, v14, vcc_lo
	v_cndmask_b32_e32 v6, v6, v13, vcc_lo
	v_and_b32_e32 v3, v7, v3
	v_and_b32_e32 v2, v6, v2
	v_mul_lo_u32 v3, v3, 24
	v_mul_hi_u32 v13, v2, 24
	v_mul_lo_u32 v2, v2, 24
	v_add_nc_u32_e32 v3, v13, v3
	s_waitcnt vmcnt(0)
	v_add_co_u32 v2, vcc_lo, v8, v2
	v_mov_b32_e32 v8, v11
	v_add_co_ci_u32_e32 v3, vcc_lo, v9, v3, vcc_lo
	v_mov_b32_e32 v9, v12
	global_store_dwordx2 v[2:3], v[11:12], off
	s_waitcnt_vscnt null, 0x0
	global_atomic_cmpswap_x2 v[8:9], v10, v[6:9], s[38:39] offset:24 glc
	s_waitcnt vmcnt(0)
	v_cmp_ne_u64_e32 vcc_lo, v[8:9], v[11:12]
	s_and_b32 exec_lo, exec_lo, vcc_lo
	s_cbranch_execz .LBB3_1420
; %bb.1418:
	s_mov_b32 s4, 0
.LBB3_1419:                             ; =>This Inner Loop Header: Depth=1
	s_sleep 1
	global_store_dwordx2 v[2:3], v[8:9], off
	s_waitcnt_vscnt null, 0x0
	global_atomic_cmpswap_x2 v[11:12], v10, v[6:9], s[38:39] offset:24 glc
	s_waitcnt vmcnt(0)
	v_cmp_eq_u64_e32 vcc_lo, v[11:12], v[8:9]
	v_mov_b32_e32 v8, v11
	v_mov_b32_e32 v9, v12
	s_or_b32 s4, vcc_lo, s4
	s_andn2_b32 exec_lo, exec_lo, s4
	s_cbranch_execnz .LBB3_1419
.LBB3_1420:
	s_or_b32 exec_lo, exec_lo, s5
.LBB3_1421:
	s_getpc_b64 s[6:7]
	s_add_u32 s6, s6, .str.5@rel32@lo+4
	s_addc_u32 s7, s7, .str.5@rel32@hi+12
	s_cmp_lg_u64 s[6:7], 0
	s_cbranch_scc0 .LBB3_1500
; %bb.1422:
	s_waitcnt vmcnt(0)
	v_and_b32_e32 v10, -3, v0
	v_mov_b32_e32 v11, v1
	v_mov_b32_e32 v7, 0
	;; [unrolled: 1-line block ×4, first 2 shown]
	s_mov_b64 s[10:11], 13
	s_branch .LBB3_1424
.LBB3_1423:                             ;   in Loop: Header=BB3_1424 Depth=1
	s_or_b32 exec_lo, exec_lo, s5
	s_sub_u32 s10, s10, s16
	s_subb_u32 s11, s11, s17
	s_add_u32 s6, s6, s16
	s_addc_u32 s7, s7, s17
	s_cmp_lg_u64 s[10:11], 0
	s_cbranch_scc0 .LBB3_1499
.LBB3_1424:                             ; =>This Loop Header: Depth=1
                                        ;     Child Loop BB3_1433 Depth 2
                                        ;     Child Loop BB3_1429 Depth 2
	;; [unrolled: 1-line block ×11, first 2 shown]
	v_cmp_lt_u64_e64 s4, s[10:11], 56
	v_cmp_gt_u64_e64 s5, s[10:11], 7
                                        ; implicit-def: $sgpr15
	s_and_b32 s4, s4, exec_lo
	s_cselect_b32 s17, s11, 0
	s_cselect_b32 s16, s10, 56
	s_and_b32 vcc_lo, exec_lo, s5
	s_mov_b32 s4, -1
	s_cbranch_vccz .LBB3_1431
; %bb.1425:                             ;   in Loop: Header=BB3_1424 Depth=1
	s_andn2_b32 vcc_lo, exec_lo, s4
	s_mov_b64 s[4:5], s[6:7]
	s_cbranch_vccz .LBB3_1435
.LBB3_1426:                             ;   in Loop: Header=BB3_1424 Depth=1
	s_cmp_gt_u32 s15, 7
	s_cbranch_scc1 .LBB3_1436
.LBB3_1427:                             ;   in Loop: Header=BB3_1424 Depth=1
	v_mov_b32_e32 v14, 0
	v_mov_b32_e32 v15, 0
	s_cmp_eq_u32 s15, 0
	s_cbranch_scc1 .LBB3_1430
; %bb.1428:                             ;   in Loop: Header=BB3_1424 Depth=1
	s_mov_b64 s[18:19], 0
	s_mov_b64 s[20:21], 0
.LBB3_1429:                             ;   Parent Loop BB3_1424 Depth=1
                                        ; =>  This Inner Loop Header: Depth=2
	s_add_u32 s22, s4, s20
	s_addc_u32 s23, s5, s21
	s_add_u32 s20, s20, 1
	global_load_ubyte v2, v7, s[22:23]
	s_addc_u32 s21, s21, 0
	s_waitcnt vmcnt(0)
	v_and_b32_e32 v6, 0xffff, v2
	v_lshlrev_b64 v[2:3], s18, v[6:7]
	s_add_u32 s18, s18, 8
	s_addc_u32 s19, s19, 0
	s_cmp_lg_u32 s15, s20
	v_or_b32_e32 v14, v2, v14
	v_or_b32_e32 v15, v3, v15
	s_cbranch_scc1 .LBB3_1429
.LBB3_1430:                             ;   in Loop: Header=BB3_1424 Depth=1
	s_mov_b32 s22, 0
	s_cbranch_execz .LBB3_1437
	s_branch .LBB3_1438
.LBB3_1431:                             ;   in Loop: Header=BB3_1424 Depth=1
	s_waitcnt vmcnt(0)
	v_mov_b32_e32 v12, 0
	v_mov_b32_e32 v13, 0
	s_cmp_eq_u64 s[10:11], 0
	s_mov_b64 s[4:5], 0
	s_cbranch_scc1 .LBB3_1434
; %bb.1432:                             ;   in Loop: Header=BB3_1424 Depth=1
	v_mov_b32_e32 v12, 0
	v_mov_b32_e32 v13, 0
	s_lshl_b64 s[18:19], s[16:17], 3
	s_mov_b64 s[20:21], s[6:7]
.LBB3_1433:                             ;   Parent Loop BB3_1424 Depth=1
                                        ; =>  This Inner Loop Header: Depth=2
	global_load_ubyte v2, v7, s[20:21]
	s_waitcnt vmcnt(0)
	v_and_b32_e32 v6, 0xffff, v2
	v_lshlrev_b64 v[2:3], s4, v[6:7]
	s_add_u32 s4, s4, 8
	s_addc_u32 s5, s5, 0
	s_add_u32 s20, s20, 1
	s_addc_u32 s21, s21, 0
	s_cmp_lg_u32 s18, s4
	v_or_b32_e32 v12, v2, v12
	v_or_b32_e32 v13, v3, v13
	s_cbranch_scc1 .LBB3_1433
.LBB3_1434:                             ;   in Loop: Header=BB3_1424 Depth=1
	s_mov_b32 s15, 0
	s_mov_b64 s[4:5], s[6:7]
	s_cbranch_execnz .LBB3_1426
.LBB3_1435:                             ;   in Loop: Header=BB3_1424 Depth=1
	global_load_dwordx2 v[12:13], v7, s[6:7]
	s_add_i32 s15, s16, -8
	s_add_u32 s4, s6, 8
	s_addc_u32 s5, s7, 0
	s_cmp_gt_u32 s15, 7
	s_cbranch_scc0 .LBB3_1427
.LBB3_1436:                             ;   in Loop: Header=BB3_1424 Depth=1
                                        ; implicit-def: $vgpr14_vgpr15
                                        ; implicit-def: $sgpr22
.LBB3_1437:                             ;   in Loop: Header=BB3_1424 Depth=1
	global_load_dwordx2 v[14:15], v7, s[4:5]
	s_add_i32 s22, s15, -8
	s_add_u32 s4, s4, 8
	s_addc_u32 s5, s5, 0
.LBB3_1438:                             ;   in Loop: Header=BB3_1424 Depth=1
	s_cmp_gt_u32 s22, 7
	s_cbranch_scc1 .LBB3_1443
; %bb.1439:                             ;   in Loop: Header=BB3_1424 Depth=1
	v_mov_b32_e32 v16, 0
	v_mov_b32_e32 v17, 0
	s_cmp_eq_u32 s22, 0
	s_cbranch_scc1 .LBB3_1442
; %bb.1440:                             ;   in Loop: Header=BB3_1424 Depth=1
	s_mov_b64 s[18:19], 0
	s_mov_b64 s[20:21], 0
.LBB3_1441:                             ;   Parent Loop BB3_1424 Depth=1
                                        ; =>  This Inner Loop Header: Depth=2
	s_add_u32 s24, s4, s20
	s_addc_u32 s25, s5, s21
	s_add_u32 s20, s20, 1
	global_load_ubyte v2, v7, s[24:25]
	s_addc_u32 s21, s21, 0
	s_waitcnt vmcnt(0)
	v_and_b32_e32 v6, 0xffff, v2
	v_lshlrev_b64 v[2:3], s18, v[6:7]
	s_add_u32 s18, s18, 8
	s_addc_u32 s19, s19, 0
	s_cmp_lg_u32 s22, s20
	v_or_b32_e32 v16, v2, v16
	v_or_b32_e32 v17, v3, v17
	s_cbranch_scc1 .LBB3_1441
.LBB3_1442:                             ;   in Loop: Header=BB3_1424 Depth=1
	s_mov_b32 s15, 0
	s_cbranch_execz .LBB3_1444
	s_branch .LBB3_1445
.LBB3_1443:                             ;   in Loop: Header=BB3_1424 Depth=1
                                        ; implicit-def: $sgpr15
.LBB3_1444:                             ;   in Loop: Header=BB3_1424 Depth=1
	global_load_dwordx2 v[16:17], v7, s[4:5]
	s_add_i32 s15, s22, -8
	s_add_u32 s4, s4, 8
	s_addc_u32 s5, s5, 0
.LBB3_1445:                             ;   in Loop: Header=BB3_1424 Depth=1
	s_cmp_gt_u32 s15, 7
	s_cbranch_scc1 .LBB3_1450
; %bb.1446:                             ;   in Loop: Header=BB3_1424 Depth=1
	v_mov_b32_e32 v18, 0
	v_mov_b32_e32 v19, 0
	s_cmp_eq_u32 s15, 0
	s_cbranch_scc1 .LBB3_1449
; %bb.1447:                             ;   in Loop: Header=BB3_1424 Depth=1
	s_mov_b64 s[18:19], 0
	s_mov_b64 s[20:21], 0
.LBB3_1448:                             ;   Parent Loop BB3_1424 Depth=1
                                        ; =>  This Inner Loop Header: Depth=2
	s_add_u32 s22, s4, s20
	s_addc_u32 s23, s5, s21
	s_add_u32 s20, s20, 1
	global_load_ubyte v2, v7, s[22:23]
	s_addc_u32 s21, s21, 0
	s_waitcnt vmcnt(0)
	v_and_b32_e32 v6, 0xffff, v2
	v_lshlrev_b64 v[2:3], s18, v[6:7]
	s_add_u32 s18, s18, 8
	s_addc_u32 s19, s19, 0
	s_cmp_lg_u32 s15, s20
	v_or_b32_e32 v18, v2, v18
	v_or_b32_e32 v19, v3, v19
	s_cbranch_scc1 .LBB3_1448
.LBB3_1449:                             ;   in Loop: Header=BB3_1424 Depth=1
	s_mov_b32 s22, 0
	s_cbranch_execz .LBB3_1451
	s_branch .LBB3_1452
.LBB3_1450:                             ;   in Loop: Header=BB3_1424 Depth=1
                                        ; implicit-def: $vgpr18_vgpr19
                                        ; implicit-def: $sgpr22
.LBB3_1451:                             ;   in Loop: Header=BB3_1424 Depth=1
	global_load_dwordx2 v[18:19], v7, s[4:5]
	s_add_i32 s22, s15, -8
	s_add_u32 s4, s4, 8
	s_addc_u32 s5, s5, 0
.LBB3_1452:                             ;   in Loop: Header=BB3_1424 Depth=1
	s_cmp_gt_u32 s22, 7
	s_cbranch_scc1 .LBB3_1457
; %bb.1453:                             ;   in Loop: Header=BB3_1424 Depth=1
	v_mov_b32_e32 v20, 0
	v_mov_b32_e32 v21, 0
	s_cmp_eq_u32 s22, 0
	s_cbranch_scc1 .LBB3_1456
; %bb.1454:                             ;   in Loop: Header=BB3_1424 Depth=1
	s_mov_b64 s[18:19], 0
	s_mov_b64 s[20:21], 0
.LBB3_1455:                             ;   Parent Loop BB3_1424 Depth=1
                                        ; =>  This Inner Loop Header: Depth=2
	s_add_u32 s24, s4, s20
	s_addc_u32 s25, s5, s21
	s_add_u32 s20, s20, 1
	global_load_ubyte v2, v7, s[24:25]
	s_addc_u32 s21, s21, 0
	s_waitcnt vmcnt(0)
	v_and_b32_e32 v6, 0xffff, v2
	v_lshlrev_b64 v[2:3], s18, v[6:7]
	s_add_u32 s18, s18, 8
	s_addc_u32 s19, s19, 0
	s_cmp_lg_u32 s22, s20
	v_or_b32_e32 v20, v2, v20
	v_or_b32_e32 v21, v3, v21
	s_cbranch_scc1 .LBB3_1455
.LBB3_1456:                             ;   in Loop: Header=BB3_1424 Depth=1
	s_mov_b32 s15, 0
	s_cbranch_execz .LBB3_1458
	s_branch .LBB3_1459
.LBB3_1457:                             ;   in Loop: Header=BB3_1424 Depth=1
                                        ; implicit-def: $sgpr15
.LBB3_1458:                             ;   in Loop: Header=BB3_1424 Depth=1
	global_load_dwordx2 v[20:21], v7, s[4:5]
	s_add_i32 s15, s22, -8
	s_add_u32 s4, s4, 8
	s_addc_u32 s5, s5, 0
.LBB3_1459:                             ;   in Loop: Header=BB3_1424 Depth=1
	s_cmp_gt_u32 s15, 7
	s_cbranch_scc1 .LBB3_1464
; %bb.1460:                             ;   in Loop: Header=BB3_1424 Depth=1
	v_mov_b32_e32 v22, 0
	v_mov_b32_e32 v23, 0
	s_cmp_eq_u32 s15, 0
	s_cbranch_scc1 .LBB3_1463
; %bb.1461:                             ;   in Loop: Header=BB3_1424 Depth=1
	s_mov_b64 s[18:19], 0
	s_mov_b64 s[20:21], 0
.LBB3_1462:                             ;   Parent Loop BB3_1424 Depth=1
                                        ; =>  This Inner Loop Header: Depth=2
	s_add_u32 s22, s4, s20
	s_addc_u32 s23, s5, s21
	s_add_u32 s20, s20, 1
	global_load_ubyte v2, v7, s[22:23]
	s_addc_u32 s21, s21, 0
	s_waitcnt vmcnt(0)
	v_and_b32_e32 v6, 0xffff, v2
	v_lshlrev_b64 v[2:3], s18, v[6:7]
	s_add_u32 s18, s18, 8
	s_addc_u32 s19, s19, 0
	s_cmp_lg_u32 s15, s20
	v_or_b32_e32 v22, v2, v22
	v_or_b32_e32 v23, v3, v23
	s_cbranch_scc1 .LBB3_1462
.LBB3_1463:                             ;   in Loop: Header=BB3_1424 Depth=1
	s_mov_b32 s22, 0
	s_cbranch_execz .LBB3_1465
	s_branch .LBB3_1466
.LBB3_1464:                             ;   in Loop: Header=BB3_1424 Depth=1
                                        ; implicit-def: $vgpr22_vgpr23
                                        ; implicit-def: $sgpr22
.LBB3_1465:                             ;   in Loop: Header=BB3_1424 Depth=1
	global_load_dwordx2 v[22:23], v7, s[4:5]
	s_add_i32 s22, s15, -8
	s_add_u32 s4, s4, 8
	s_addc_u32 s5, s5, 0
.LBB3_1466:                             ;   in Loop: Header=BB3_1424 Depth=1
	s_cmp_gt_u32 s22, 7
	s_cbranch_scc1 .LBB3_1471
; %bb.1467:                             ;   in Loop: Header=BB3_1424 Depth=1
	v_mov_b32_e32 v24, 0
	v_mov_b32_e32 v25, 0
	s_cmp_eq_u32 s22, 0
	s_cbranch_scc1 .LBB3_1470
; %bb.1468:                             ;   in Loop: Header=BB3_1424 Depth=1
	s_mov_b64 s[18:19], 0
	s_mov_b64 s[20:21], s[4:5]
.LBB3_1469:                             ;   Parent Loop BB3_1424 Depth=1
                                        ; =>  This Inner Loop Header: Depth=2
	global_load_ubyte v2, v7, s[20:21]
	s_add_i32 s22, s22, -1
	s_waitcnt vmcnt(0)
	v_and_b32_e32 v6, 0xffff, v2
	v_lshlrev_b64 v[2:3], s18, v[6:7]
	s_add_u32 s18, s18, 8
	s_addc_u32 s19, s19, 0
	s_add_u32 s20, s20, 1
	s_addc_u32 s21, s21, 0
	s_cmp_lg_u32 s22, 0
	v_or_b32_e32 v24, v2, v24
	v_or_b32_e32 v25, v3, v25
	s_cbranch_scc1 .LBB3_1469
.LBB3_1470:                             ;   in Loop: Header=BB3_1424 Depth=1
	s_cbranch_execz .LBB3_1472
	s_branch .LBB3_1473
.LBB3_1471:                             ;   in Loop: Header=BB3_1424 Depth=1
.LBB3_1472:                             ;   in Loop: Header=BB3_1424 Depth=1
	global_load_dwordx2 v[24:25], v7, s[4:5]
.LBB3_1473:                             ;   in Loop: Header=BB3_1424 Depth=1
	v_readfirstlane_b32 s4, v51
	v_mov_b32_e32 v2, 0
	v_mov_b32_e32 v3, 0
	v_cmp_eq_u32_e64 s4, s4, v51
	s_and_saveexec_b32 s5, s4
	s_cbranch_execz .LBB3_1479
; %bb.1474:                             ;   in Loop: Header=BB3_1424 Depth=1
	global_load_dwordx2 v[28:29], v7, s[38:39] offset:24 glc dlc
	s_waitcnt vmcnt(0)
	buffer_gl1_inv
	buffer_gl0_inv
	s_clause 0x1
	global_load_dwordx2 v[2:3], v7, s[38:39] offset:40
	global_load_dwordx2 v[26:27], v7, s[38:39]
	s_mov_b32 s15, exec_lo
	s_waitcnt vmcnt(1)
	v_and_b32_e32 v3, v3, v29
	v_and_b32_e32 v2, v2, v28
	v_mul_lo_u32 v3, v3, 24
	v_mul_hi_u32 v6, v2, 24
	v_mul_lo_u32 v2, v2, 24
	v_add_nc_u32_e32 v3, v6, v3
	s_waitcnt vmcnt(0)
	v_add_co_u32 v2, vcc_lo, v26, v2
	v_add_co_ci_u32_e32 v3, vcc_lo, v27, v3, vcc_lo
	global_load_dwordx2 v[26:27], v[2:3], off glc dlc
	s_waitcnt vmcnt(0)
	global_atomic_cmpswap_x2 v[2:3], v7, v[26:29], s[38:39] offset:24 glc
	s_waitcnt vmcnt(0)
	buffer_gl1_inv
	buffer_gl0_inv
	v_cmpx_ne_u64_e64 v[2:3], v[28:29]
	s_cbranch_execz .LBB3_1478
; %bb.1475:                             ;   in Loop: Header=BB3_1424 Depth=1
	s_mov_b32 s18, 0
	.p2align	6
.LBB3_1476:                             ;   Parent Loop BB3_1424 Depth=1
                                        ; =>  This Inner Loop Header: Depth=2
	s_sleep 1
	s_clause 0x1
	global_load_dwordx2 v[26:27], v7, s[38:39] offset:40
	global_load_dwordx2 v[30:31], v7, s[38:39]
	v_mov_b32_e32 v29, v3
	v_mov_b32_e32 v28, v2
	s_waitcnt vmcnt(1)
	v_and_b32_e32 v2, v26, v28
	v_and_b32_e32 v6, v27, v29
	s_waitcnt vmcnt(0)
	v_mad_u64_u32 v[2:3], null, v2, 24, v[30:31]
	v_mad_u64_u32 v[26:27], null, v6, 24, v[3:4]
	v_mov_b32_e32 v3, v26
	global_load_dwordx2 v[26:27], v[2:3], off glc dlc
	s_waitcnt vmcnt(0)
	global_atomic_cmpswap_x2 v[2:3], v7, v[26:29], s[38:39] offset:24 glc
	s_waitcnt vmcnt(0)
	buffer_gl1_inv
	buffer_gl0_inv
	v_cmp_eq_u64_e32 vcc_lo, v[2:3], v[28:29]
	s_or_b32 s18, vcc_lo, s18
	s_andn2_b32 exec_lo, exec_lo, s18
	s_cbranch_execnz .LBB3_1476
; %bb.1477:                             ;   in Loop: Header=BB3_1424 Depth=1
	s_or_b32 exec_lo, exec_lo, s18
.LBB3_1478:                             ;   in Loop: Header=BB3_1424 Depth=1
	s_or_b32 exec_lo, exec_lo, s15
.LBB3_1479:                             ;   in Loop: Header=BB3_1424 Depth=1
	s_or_b32 exec_lo, exec_lo, s5
	s_clause 0x1
	global_load_dwordx2 v[30:31], v7, s[38:39] offset:40
	global_load_dwordx4 v[26:29], v7, s[38:39]
	v_readfirstlane_b32 s18, v2
	v_readfirstlane_b32 s19, v3
	s_mov_b32 s5, exec_lo
	s_waitcnt vmcnt(1)
	v_readfirstlane_b32 s20, v30
	v_readfirstlane_b32 s21, v31
	s_and_b64 s[20:21], s[18:19], s[20:21]
	s_mul_i32 s15, s21, 24
	s_mul_hi_u32 s22, s20, 24
	s_mul_i32 s23, s20, 24
	s_add_i32 s22, s22, s15
	s_waitcnt vmcnt(0)
	v_add_co_u32 v2, vcc_lo, v26, s23
	v_add_co_ci_u32_e32 v3, vcc_lo, s22, v27, vcc_lo
	s_and_saveexec_b32 s15, s4
	s_cbranch_execz .LBB3_1481
; %bb.1480:                             ;   in Loop: Header=BB3_1424 Depth=1
	v_mov_b32_e32 v6, s5
	global_store_dwordx4 v[2:3], v[6:9], off offset:8
.LBB3_1481:                             ;   in Loop: Header=BB3_1424 Depth=1
	s_or_b32 exec_lo, exec_lo, s15
	s_lshl_b64 s[20:21], s[20:21], 12
	v_or_b32_e32 v6, 2, v10
	v_add_co_u32 v28, vcc_lo, v28, s20
	v_add_co_ci_u32_e32 v29, vcc_lo, s21, v29, vcc_lo
	v_cmp_gt_u64_e64 vcc_lo, s[10:11], 56
	s_lshl_b32 s5, s16, 2
	v_readfirstlane_b32 s20, v28
	s_add_i32 s5, s5, 28
	v_readfirstlane_b32 s21, v29
	s_and_b32 s5, s5, 0x1e0
	v_cndmask_b32_e32 v6, v6, v10, vcc_lo
	v_and_or_b32 v10, 0xffffff1f, v6, s5
	global_store_dwordx4 v50, v[14:17], s[20:21] offset:16
	global_store_dwordx4 v50, v[10:13], s[20:21]
	global_store_dwordx4 v50, v[18:21], s[20:21] offset:32
	global_store_dwordx4 v50, v[22:25], s[20:21] offset:48
	s_and_saveexec_b32 s5, s4
	s_cbranch_execz .LBB3_1489
; %bb.1482:                             ;   in Loop: Header=BB3_1424 Depth=1
	s_clause 0x1
	global_load_dwordx2 v[18:19], v7, s[38:39] offset:32 glc dlc
	global_load_dwordx2 v[10:11], v7, s[38:39] offset:40
	v_mov_b32_e32 v16, s18
	v_mov_b32_e32 v17, s19
	s_waitcnt vmcnt(0)
	v_readfirstlane_b32 s20, v10
	v_readfirstlane_b32 s21, v11
	s_and_b64 s[20:21], s[20:21], s[18:19]
	s_mul_i32 s15, s21, 24
	s_mul_hi_u32 s21, s20, 24
	s_mul_i32 s20, s20, 24
	s_add_i32 s21, s21, s15
	v_add_co_u32 v14, vcc_lo, v26, s20
	v_add_co_ci_u32_e32 v15, vcc_lo, s21, v27, vcc_lo
	s_mov_b32 s15, exec_lo
	global_store_dwordx2 v[14:15], v[18:19], off
	s_waitcnt_vscnt null, 0x0
	global_atomic_cmpswap_x2 v[12:13], v7, v[16:19], s[38:39] offset:32 glc
	s_waitcnt vmcnt(0)
	v_cmpx_ne_u64_e64 v[12:13], v[18:19]
	s_cbranch_execz .LBB3_1485
; %bb.1483:                             ;   in Loop: Header=BB3_1424 Depth=1
	s_mov_b32 s20, 0
.LBB3_1484:                             ;   Parent Loop BB3_1424 Depth=1
                                        ; =>  This Inner Loop Header: Depth=2
	v_mov_b32_e32 v10, s18
	v_mov_b32_e32 v11, s19
	s_sleep 1
	global_store_dwordx2 v[14:15], v[12:13], off
	s_waitcnt_vscnt null, 0x0
	global_atomic_cmpswap_x2 v[10:11], v7, v[10:13], s[38:39] offset:32 glc
	s_waitcnt vmcnt(0)
	v_cmp_eq_u64_e32 vcc_lo, v[10:11], v[12:13]
	v_mov_b32_e32 v13, v11
	v_mov_b32_e32 v12, v10
	s_or_b32 s20, vcc_lo, s20
	s_andn2_b32 exec_lo, exec_lo, s20
	s_cbranch_execnz .LBB3_1484
.LBB3_1485:                             ;   in Loop: Header=BB3_1424 Depth=1
	s_or_b32 exec_lo, exec_lo, s15
	global_load_dwordx2 v[10:11], v7, s[38:39] offset:16
	s_mov_b32 s20, exec_lo
	s_mov_b32 s15, exec_lo
	v_mbcnt_lo_u32_b32 v6, s20, 0
	v_cmpx_eq_u32_e32 0, v6
	s_cbranch_execz .LBB3_1487
; %bb.1486:                             ;   in Loop: Header=BB3_1424 Depth=1
	s_bcnt1_i32_b32 s20, s20
	v_mov_b32_e32 v6, s20
	s_waitcnt vmcnt(0)
	global_atomic_add_x2 v[10:11], v[6:7], off offset:8
.LBB3_1487:                             ;   in Loop: Header=BB3_1424 Depth=1
	s_or_b32 exec_lo, exec_lo, s15
	s_waitcnt vmcnt(0)
	global_load_dwordx2 v[12:13], v[10:11], off offset:16
	s_waitcnt vmcnt(0)
	v_cmp_eq_u64_e32 vcc_lo, 0, v[12:13]
	s_cbranch_vccnz .LBB3_1489
; %bb.1488:                             ;   in Loop: Header=BB3_1424 Depth=1
	global_load_dword v6, v[10:11], off offset:24
	s_waitcnt vmcnt(0)
	v_and_b32_e32 v10, 0x7fffff, v6
	s_waitcnt_vscnt null, 0x0
	global_store_dwordx2 v[12:13], v[6:7], off
	v_readfirstlane_b32 m0, v10
	s_sendmsg sendmsg(MSG_INTERRUPT)
.LBB3_1489:                             ;   in Loop: Header=BB3_1424 Depth=1
	s_or_b32 exec_lo, exec_lo, s5
	v_add_co_u32 v10, vcc_lo, v28, v50
	v_add_co_ci_u32_e32 v11, vcc_lo, 0, v29, vcc_lo
	s_branch .LBB3_1493
	.p2align	6
.LBB3_1490:                             ;   in Loop: Header=BB3_1493 Depth=2
	s_or_b32 exec_lo, exec_lo, s5
	v_readfirstlane_b32 s5, v6
	s_cmp_eq_u32 s5, 0
	s_cbranch_scc1 .LBB3_1492
; %bb.1491:                             ;   in Loop: Header=BB3_1493 Depth=2
	s_sleep 1
	s_cbranch_execnz .LBB3_1493
	s_branch .LBB3_1495
	.p2align	6
.LBB3_1492:                             ;   in Loop: Header=BB3_1424 Depth=1
	s_branch .LBB3_1495
.LBB3_1493:                             ;   Parent Loop BB3_1424 Depth=1
                                        ; =>  This Inner Loop Header: Depth=2
	v_mov_b32_e32 v6, 1
	s_and_saveexec_b32 s5, s4
	s_cbranch_execz .LBB3_1490
; %bb.1494:                             ;   in Loop: Header=BB3_1493 Depth=2
	global_load_dword v6, v[2:3], off offset:20 glc dlc
	s_waitcnt vmcnt(0)
	buffer_gl1_inv
	buffer_gl0_inv
	v_and_b32_e32 v6, 1, v6
	s_branch .LBB3_1490
.LBB3_1495:                             ;   in Loop: Header=BB3_1424 Depth=1
	global_load_dwordx4 v[10:13], v[10:11], off
	s_and_saveexec_b32 s5, s4
	s_cbranch_execz .LBB3_1423
; %bb.1496:                             ;   in Loop: Header=BB3_1424 Depth=1
	s_clause 0x2
	global_load_dwordx2 v[2:3], v7, s[38:39] offset:40
	global_load_dwordx2 v[16:17], v7, s[38:39] offset:24 glc dlc
	global_load_dwordx2 v[14:15], v7, s[38:39]
	s_waitcnt vmcnt(2)
	v_add_co_u32 v6, vcc_lo, v2, 1
	v_add_co_ci_u32_e32 v18, vcc_lo, 0, v3, vcc_lo
	v_add_co_u32 v12, vcc_lo, v6, s18
	v_add_co_ci_u32_e32 v13, vcc_lo, s19, v18, vcc_lo
	v_cmp_eq_u64_e32 vcc_lo, 0, v[12:13]
	v_cndmask_b32_e32 v13, v13, v18, vcc_lo
	v_cndmask_b32_e32 v12, v12, v6, vcc_lo
	v_and_b32_e32 v3, v13, v3
	v_and_b32_e32 v2, v12, v2
	v_mul_lo_u32 v3, v3, 24
	v_mul_hi_u32 v6, v2, 24
	v_mul_lo_u32 v2, v2, 24
	v_add_nc_u32_e32 v3, v6, v3
	s_waitcnt vmcnt(0)
	v_add_co_u32 v2, vcc_lo, v14, v2
	v_mov_b32_e32 v14, v16
	v_add_co_ci_u32_e32 v3, vcc_lo, v15, v3, vcc_lo
	v_mov_b32_e32 v15, v17
	global_store_dwordx2 v[2:3], v[16:17], off
	s_waitcnt_vscnt null, 0x0
	global_atomic_cmpswap_x2 v[14:15], v7, v[12:15], s[38:39] offset:24 glc
	s_waitcnt vmcnt(0)
	v_cmp_ne_u64_e32 vcc_lo, v[14:15], v[16:17]
	s_and_b32 exec_lo, exec_lo, vcc_lo
	s_cbranch_execz .LBB3_1423
; %bb.1497:                             ;   in Loop: Header=BB3_1424 Depth=1
	s_mov_b32 s4, 0
.LBB3_1498:                             ;   Parent Loop BB3_1424 Depth=1
                                        ; =>  This Inner Loop Header: Depth=2
	s_sleep 1
	global_store_dwordx2 v[2:3], v[14:15], off
	s_waitcnt_vscnt null, 0x0
	global_atomic_cmpswap_x2 v[16:17], v7, v[12:15], s[38:39] offset:24 glc
	s_waitcnt vmcnt(0)
	v_cmp_eq_u64_e32 vcc_lo, v[16:17], v[14:15]
	v_mov_b32_e32 v14, v16
	v_mov_b32_e32 v15, v17
	s_or_b32 s4, vcc_lo, s4
	s_andn2_b32 exec_lo, exec_lo, s4
	s_cbranch_execnz .LBB3_1498
	s_branch .LBB3_1423
.LBB3_1499:
	s_mov_b32 s4, 0
	s_branch .LBB3_1501
.LBB3_1500:
	s_mov_b32 s4, -1
.LBB3_1501:
	s_mov_b32 s43, s12
	s_mov_b32 s44, s13
	;; [unrolled: 1-line block ×3, first 2 shown]
	s_and_b32 vcc_lo, exec_lo, s4
	s_cbranch_vccz .LBB3_1529
; %bb.1502:
	v_readfirstlane_b32 s4, v51
	s_waitcnt vmcnt(0)
	v_mov_b32_e32 v10, 0
	v_mov_b32_e32 v11, 0
	v_cmp_eq_u32_e64 s4, s4, v51
	s_and_saveexec_b32 s5, s4
	s_cbranch_execz .LBB3_1508
; %bb.1503:
	v_mov_b32_e32 v2, 0
	s_mov_b32 s6, exec_lo
	global_load_dwordx2 v[8:9], v2, s[38:39] offset:24 glc dlc
	s_waitcnt vmcnt(0)
	buffer_gl1_inv
	buffer_gl0_inv
	s_clause 0x1
	global_load_dwordx2 v[6:7], v2, s[38:39] offset:40
	global_load_dwordx2 v[10:11], v2, s[38:39]
	s_waitcnt vmcnt(1)
	v_and_b32_e32 v3, v7, v9
	v_and_b32_e32 v6, v6, v8
	v_mul_lo_u32 v3, v3, 24
	v_mul_hi_u32 v7, v6, 24
	v_mul_lo_u32 v6, v6, 24
	v_add_nc_u32_e32 v3, v7, v3
	s_waitcnt vmcnt(0)
	v_add_co_u32 v6, vcc_lo, v10, v6
	v_add_co_ci_u32_e32 v7, vcc_lo, v11, v3, vcc_lo
	global_load_dwordx2 v[6:7], v[6:7], off glc dlc
	s_waitcnt vmcnt(0)
	global_atomic_cmpswap_x2 v[10:11], v2, v[6:9], s[38:39] offset:24 glc
	s_waitcnt vmcnt(0)
	buffer_gl1_inv
	buffer_gl0_inv
	v_cmpx_ne_u64_e64 v[10:11], v[8:9]
	s_cbranch_execz .LBB3_1507
; %bb.1504:
	s_mov_b32 s7, 0
	.p2align	6
.LBB3_1505:                             ; =>This Inner Loop Header: Depth=1
	s_sleep 1
	s_clause 0x1
	global_load_dwordx2 v[6:7], v2, s[38:39] offset:40
	global_load_dwordx2 v[12:13], v2, s[38:39]
	v_mov_b32_e32 v8, v10
	v_mov_b32_e32 v9, v11
	s_waitcnt vmcnt(1)
	v_and_b32_e32 v3, v6, v8
	v_and_b32_e32 v6, v7, v9
	s_waitcnt vmcnt(0)
	v_mad_u64_u32 v[10:11], null, v3, 24, v[12:13]
	v_mov_b32_e32 v3, v11
	v_mad_u64_u32 v[6:7], null, v6, 24, v[3:4]
	v_mov_b32_e32 v11, v6
	global_load_dwordx2 v[6:7], v[10:11], off glc dlc
	s_waitcnt vmcnt(0)
	global_atomic_cmpswap_x2 v[10:11], v2, v[6:9], s[38:39] offset:24 glc
	s_waitcnt vmcnt(0)
	buffer_gl1_inv
	buffer_gl0_inv
	v_cmp_eq_u64_e32 vcc_lo, v[10:11], v[8:9]
	s_or_b32 s7, vcc_lo, s7
	s_andn2_b32 exec_lo, exec_lo, s7
	s_cbranch_execnz .LBB3_1505
; %bb.1506:
	s_or_b32 exec_lo, exec_lo, s7
.LBB3_1507:
	s_or_b32 exec_lo, exec_lo, s6
.LBB3_1508:
	s_or_b32 exec_lo, exec_lo, s5
	v_mov_b32_e32 v2, 0
	v_readfirstlane_b32 s6, v10
	v_readfirstlane_b32 s7, v11
	s_mov_b32 s5, exec_lo
	s_clause 0x1
	global_load_dwordx2 v[12:13], v2, s[38:39] offset:40
	global_load_dwordx4 v[6:9], v2, s[38:39]
	s_waitcnt vmcnt(1)
	v_readfirstlane_b32 s10, v12
	v_readfirstlane_b32 s11, v13
	s_and_b64 s[10:11], s[6:7], s[10:11]
	s_mul_i32 s12, s11, 24
	s_mul_hi_u32 s13, s10, 24
	s_mul_i32 s14, s10, 24
	s_add_i32 s13, s13, s12
	s_waitcnt vmcnt(0)
	v_add_co_u32 v10, vcc_lo, v6, s14
	v_add_co_ci_u32_e32 v11, vcc_lo, s13, v7, vcc_lo
	s_and_saveexec_b32 s12, s4
	s_cbranch_execz .LBB3_1510
; %bb.1509:
	v_mov_b32_e32 v12, s5
	v_mov_b32_e32 v13, v2
	;; [unrolled: 1-line block ×4, first 2 shown]
	global_store_dwordx4 v[10:11], v[12:15], off offset:8
.LBB3_1510:
	s_or_b32 exec_lo, exec_lo, s12
	s_lshl_b64 s[10:11], s[10:11], 12
	s_mov_b32 s12, 0
	v_add_co_u32 v8, vcc_lo, v8, s10
	v_add_co_ci_u32_e32 v9, vcc_lo, s11, v9, vcc_lo
	s_mov_b32 s13, s12
	s_mov_b32 s14, s12
	;; [unrolled: 1-line block ×3, first 2 shown]
	v_and_or_b32 v0, 0xffffff1d, v0, 34
	v_mov_b32_e32 v3, v2
	v_readfirstlane_b32 s10, v8
	v_readfirstlane_b32 s11, v9
	v_mov_b32_e32 v12, s12
	v_mov_b32_e32 v13, s13
	;; [unrolled: 1-line block ×4, first 2 shown]
	global_store_dwordx4 v50, v[0:3], s[10:11]
	global_store_dwordx4 v50, v[12:15], s[10:11] offset:16
	global_store_dwordx4 v50, v[12:15], s[10:11] offset:32
	;; [unrolled: 1-line block ×3, first 2 shown]
	s_and_saveexec_b32 s5, s4
	s_cbranch_execz .LBB3_1518
; %bb.1511:
	v_mov_b32_e32 v8, 0
	v_mov_b32_e32 v12, s6
	;; [unrolled: 1-line block ×3, first 2 shown]
	s_clause 0x1
	global_load_dwordx2 v[14:15], v8, s[38:39] offset:32 glc dlc
	global_load_dwordx2 v[0:1], v8, s[38:39] offset:40
	s_waitcnt vmcnt(0)
	v_readfirstlane_b32 s10, v0
	v_readfirstlane_b32 s11, v1
	s_and_b64 s[10:11], s[10:11], s[6:7]
	s_mul_i32 s11, s11, 24
	s_mul_hi_u32 s12, s10, 24
	s_mul_i32 s10, s10, 24
	s_add_i32 s12, s12, s11
	v_add_co_u32 v6, vcc_lo, v6, s10
	v_add_co_ci_u32_e32 v7, vcc_lo, s12, v7, vcc_lo
	s_mov_b32 s10, exec_lo
	global_store_dwordx2 v[6:7], v[14:15], off
	s_waitcnt_vscnt null, 0x0
	global_atomic_cmpswap_x2 v[2:3], v8, v[12:15], s[38:39] offset:32 glc
	s_waitcnt vmcnt(0)
	v_cmpx_ne_u64_e64 v[2:3], v[14:15]
	s_cbranch_execz .LBB3_1514
; %bb.1512:
	s_mov_b32 s11, 0
.LBB3_1513:                             ; =>This Inner Loop Header: Depth=1
	v_mov_b32_e32 v0, s6
	v_mov_b32_e32 v1, s7
	s_sleep 1
	global_store_dwordx2 v[6:7], v[2:3], off
	s_waitcnt_vscnt null, 0x0
	global_atomic_cmpswap_x2 v[0:1], v8, v[0:3], s[38:39] offset:32 glc
	s_waitcnt vmcnt(0)
	v_cmp_eq_u64_e32 vcc_lo, v[0:1], v[2:3]
	v_mov_b32_e32 v3, v1
	v_mov_b32_e32 v2, v0
	s_or_b32 s11, vcc_lo, s11
	s_andn2_b32 exec_lo, exec_lo, s11
	s_cbranch_execnz .LBB3_1513
.LBB3_1514:
	s_or_b32 exec_lo, exec_lo, s10
	v_mov_b32_e32 v3, 0
	s_mov_b32 s11, exec_lo
	s_mov_b32 s10, exec_lo
	v_mbcnt_lo_u32_b32 v2, s11, 0
	global_load_dwordx2 v[0:1], v3, s[38:39] offset:16
	v_cmpx_eq_u32_e32 0, v2
	s_cbranch_execz .LBB3_1516
; %bb.1515:
	s_bcnt1_i32_b32 s11, s11
	v_mov_b32_e32 v2, s11
	s_waitcnt vmcnt(0)
	global_atomic_add_x2 v[0:1], v[2:3], off offset:8
.LBB3_1516:
	s_or_b32 exec_lo, exec_lo, s10
	s_waitcnt vmcnt(0)
	global_load_dwordx2 v[2:3], v[0:1], off offset:16
	s_waitcnt vmcnt(0)
	v_cmp_eq_u64_e32 vcc_lo, 0, v[2:3]
	s_cbranch_vccnz .LBB3_1518
; %bb.1517:
	global_load_dword v0, v[0:1], off offset:24
	v_mov_b32_e32 v1, 0
	s_waitcnt vmcnt(0)
	v_and_b32_e32 v6, 0x7fffff, v0
	s_waitcnt_vscnt null, 0x0
	global_store_dwordx2 v[2:3], v[0:1], off
	v_readfirstlane_b32 m0, v6
	s_sendmsg sendmsg(MSG_INTERRUPT)
.LBB3_1518:
	s_or_b32 exec_lo, exec_lo, s5
	s_branch .LBB3_1522
	.p2align	6
.LBB3_1519:                             ;   in Loop: Header=BB3_1522 Depth=1
	s_or_b32 exec_lo, exec_lo, s5
	v_readfirstlane_b32 s5, v0
	s_cmp_eq_u32 s5, 0
	s_cbranch_scc1 .LBB3_1521
; %bb.1520:                             ;   in Loop: Header=BB3_1522 Depth=1
	s_sleep 1
	s_cbranch_execnz .LBB3_1522
	s_branch .LBB3_1524
	.p2align	6
.LBB3_1521:
	s_branch .LBB3_1524
.LBB3_1522:                             ; =>This Inner Loop Header: Depth=1
	v_mov_b32_e32 v0, 1
	s_and_saveexec_b32 s5, s4
	s_cbranch_execz .LBB3_1519
; %bb.1523:                             ;   in Loop: Header=BB3_1522 Depth=1
	global_load_dword v0, v[10:11], off offset:20 glc dlc
	s_waitcnt vmcnt(0)
	buffer_gl1_inv
	buffer_gl0_inv
	v_and_b32_e32 v0, 1, v0
	s_branch .LBB3_1519
.LBB3_1524:
	s_and_saveexec_b32 s5, s4
	s_cbranch_execz .LBB3_1528
; %bb.1525:
	v_mov_b32_e32 v8, 0
	s_clause 0x2
	global_load_dwordx2 v[2:3], v8, s[38:39] offset:40
	global_load_dwordx2 v[9:10], v8, s[38:39] offset:24 glc dlc
	global_load_dwordx2 v[6:7], v8, s[38:39]
	s_waitcnt vmcnt(2)
	v_add_co_u32 v11, vcc_lo, v2, 1
	v_add_co_ci_u32_e32 v12, vcc_lo, 0, v3, vcc_lo
	v_add_co_u32 v0, vcc_lo, v11, s6
	v_add_co_ci_u32_e32 v1, vcc_lo, s7, v12, vcc_lo
	v_cmp_eq_u64_e32 vcc_lo, 0, v[0:1]
	v_cndmask_b32_e32 v1, v1, v12, vcc_lo
	v_cndmask_b32_e32 v0, v0, v11, vcc_lo
	v_and_b32_e32 v3, v1, v3
	v_and_b32_e32 v2, v0, v2
	v_mul_lo_u32 v3, v3, 24
	v_mul_hi_u32 v11, v2, 24
	v_mul_lo_u32 v2, v2, 24
	v_add_nc_u32_e32 v3, v11, v3
	s_waitcnt vmcnt(0)
	v_add_co_u32 v6, vcc_lo, v6, v2
	v_mov_b32_e32 v2, v9
	v_add_co_ci_u32_e32 v7, vcc_lo, v7, v3, vcc_lo
	v_mov_b32_e32 v3, v10
	global_store_dwordx2 v[6:7], v[9:10], off
	s_waitcnt_vscnt null, 0x0
	global_atomic_cmpswap_x2 v[2:3], v8, v[0:3], s[38:39] offset:24 glc
	s_waitcnt vmcnt(0)
	v_cmp_ne_u64_e32 vcc_lo, v[2:3], v[9:10]
	s_and_b32 exec_lo, exec_lo, vcc_lo
	s_cbranch_execz .LBB3_1528
; %bb.1526:
	s_mov_b32 s4, 0
.LBB3_1527:                             ; =>This Inner Loop Header: Depth=1
	s_sleep 1
	global_store_dwordx2 v[6:7], v[2:3], off
	s_waitcnt_vscnt null, 0x0
	global_atomic_cmpswap_x2 v[9:10], v8, v[0:3], s[38:39] offset:24 glc
	s_waitcnt vmcnt(0)
	v_cmp_eq_u64_e32 vcc_lo, v[9:10], v[2:3]
	v_mov_b32_e32 v2, v9
	v_mov_b32_e32 v3, v10
	s_or_b32 s4, vcc_lo, s4
	s_andn2_b32 exec_lo, exec_lo, s4
	s_cbranch_execnz .LBB3_1527
.LBB3_1528:
	s_or_b32 exec_lo, exec_lo, s5
.LBB3_1529:
	s_waitcnt vmcnt(0)
	v_mov_b32_e32 v0, v4
	v_mov_b32_e32 v1, v5
	s_getpc_b64 s[46:47]
	s_add_u32 s46, s46, _ZNK8migraphx13basic_printerIZNS_4coutEvEUlT_E_ElsEPKc@rel32@lo+4
	s_addc_u32 s47, s47, _ZNK8migraphx13basic_printerIZNS_4coutEvEUlT_E_ElsEPKc@rel32@hi+12
	s_mov_b64 s[36:37], s[8:9]
	s_swappc_b64 s[30:31], s[46:47]
	s_getpc_b64 s[4:5]
	s_add_u32 s4, s4, .str.6@rel32@lo+4
	s_addc_u32 s5, s5, .str.6@rel32@hi+12
	v_mov_b32_e32 v0, s4
	v_mov_b32_e32 v1, s5
	s_mov_b64 s[8:9], s[36:37]
	s_swappc_b64 s[30:31], s[46:47]
	v_mov_b32_e32 v0, v36
	v_mov_b32_e32 v1, v37
	s_mov_b64 s[8:9], s[36:37]
	s_getpc_b64 s[4:5]
	s_add_u32 s4, s4, _ZN8migraphx4testlsIKNS_13basic_printerIZNS_4coutEvEUlT_E_EEEERS3_S7_RKNS0_10expressionINS0_14lhs_expressionIRiNS0_3nopEEEiNS0_5equalEEE@rel32@lo+4
	s_addc_u32 s5, s5, _ZN8migraphx4testlsIKNS_13basic_printerIZNS_4coutEvEUlT_E_EEEERS3_S7_RKNS0_10expressionINS0_14lhs_expressionIRiNS0_3nopEEEiNS0_5equalEEE@rel32@hi+12
	s_swappc_b64 s[30:31], s[4:5]
	s_getpc_b64 s[4:5]
	s_add_u32 s4, s4, .str.7@rel32@lo+4
	s_addc_u32 s5, s5, .str.7@rel32@hi+12
	v_mov_b32_e32 v0, s4
	v_mov_b32_e32 v1, s5
	s_mov_b64 s[8:9], s[36:37]
	s_mov_b64 s[22:23], s[36:37]
	s_swappc_b64 s[30:31], s[46:47]
	v_readfirstlane_b32 s4, v51
	v_mov_b32_e32 v6, 0
	v_mov_b32_e32 v7, 0
	v_cmp_eq_u32_e64 s4, s4, v51
	s_and_saveexec_b32 s5, s4
	s_mov_b32 s14, s45
	s_mov_b32 s13, s44
	s_mov_b32 s12, s43
	s_cbranch_execz .LBB3_1535
; %bb.1530:
	v_mov_b32_e32 v0, 0
	s_mov_b32 s6, exec_lo
	global_load_dwordx2 v[3:4], v0, s[38:39] offset:24 glc dlc
	s_waitcnt vmcnt(0)
	buffer_gl1_inv
	buffer_gl0_inv
	s_clause 0x1
	global_load_dwordx2 v[1:2], v0, s[38:39] offset:40
	global_load_dwordx2 v[5:6], v0, s[38:39]
	s_waitcnt vmcnt(1)
	v_and_b32_e32 v2, v2, v4
	v_and_b32_e32 v1, v1, v3
	v_mul_lo_u32 v2, v2, 24
	v_mul_hi_u32 v7, v1, 24
	v_mul_lo_u32 v1, v1, 24
	v_add_nc_u32_e32 v2, v7, v2
	s_waitcnt vmcnt(0)
	v_add_co_u32 v1, vcc_lo, v5, v1
	v_add_co_ci_u32_e32 v2, vcc_lo, v6, v2, vcc_lo
	global_load_dwordx2 v[1:2], v[1:2], off glc dlc
	s_waitcnt vmcnt(0)
	global_atomic_cmpswap_x2 v[6:7], v0, v[1:4], s[38:39] offset:24 glc
	s_waitcnt vmcnt(0)
	buffer_gl1_inv
	buffer_gl0_inv
	v_cmpx_ne_u64_e64 v[6:7], v[3:4]
	s_cbranch_execz .LBB3_1534
; %bb.1531:
	s_mov_b32 s7, 0
	.p2align	6
.LBB3_1532:                             ; =>This Inner Loop Header: Depth=1
	s_sleep 1
	s_clause 0x1
	global_load_dwordx2 v[1:2], v0, s[38:39] offset:40
	global_load_dwordx2 v[8:9], v0, s[38:39]
	v_mov_b32_e32 v3, v6
	v_mov_b32_e32 v4, v7
	s_waitcnt vmcnt(1)
	v_and_b32_e32 v1, v1, v3
	v_and_b32_e32 v2, v2, v4
	s_waitcnt vmcnt(0)
	v_mad_u64_u32 v[5:6], null, v1, 24, v[8:9]
	v_mov_b32_e32 v1, v6
	v_mad_u64_u32 v[1:2], null, v2, 24, v[1:2]
	v_mov_b32_e32 v6, v1
	global_load_dwordx2 v[1:2], v[5:6], off glc dlc
	s_waitcnt vmcnt(0)
	global_atomic_cmpswap_x2 v[6:7], v0, v[1:4], s[38:39] offset:24 glc
	s_waitcnt vmcnt(0)
	buffer_gl1_inv
	buffer_gl0_inv
	v_cmp_eq_u64_e32 vcc_lo, v[6:7], v[3:4]
	s_or_b32 s7, vcc_lo, s7
	s_andn2_b32 exec_lo, exec_lo, s7
	s_cbranch_execnz .LBB3_1532
; %bb.1533:
	s_or_b32 exec_lo, exec_lo, s7
.LBB3_1534:
	s_or_b32 exec_lo, exec_lo, s6
.LBB3_1535:
	s_or_b32 exec_lo, exec_lo, s5
	v_mov_b32_e32 v5, 0
	v_readfirstlane_b32 s6, v6
	v_readfirstlane_b32 s7, v7
	s_mov_b32 s5, exec_lo
	s_clause 0x1
	global_load_dwordx2 v[8:9], v5, s[38:39] offset:40
	global_load_dwordx4 v[0:3], v5, s[38:39]
	s_waitcnt vmcnt(1)
	v_readfirstlane_b32 s8, v8
	v_readfirstlane_b32 s9, v9
	s_and_b64 s[8:9], s[6:7], s[8:9]
	s_mul_i32 s10, s9, 24
	s_mul_hi_u32 s11, s8, 24
	s_mul_i32 s15, s8, 24
	s_add_i32 s11, s11, s10
	s_waitcnt vmcnt(0)
	v_add_co_u32 v8, vcc_lo, v0, s15
	v_add_co_ci_u32_e32 v9, vcc_lo, s11, v1, vcc_lo
	s_and_saveexec_b32 s10, s4
	s_cbranch_execz .LBB3_1537
; %bb.1536:
	v_mov_b32_e32 v4, s5
	v_mov_b32_e32 v6, 2
	;; [unrolled: 1-line block ×3, first 2 shown]
	global_store_dwordx4 v[8:9], v[4:7], off offset:8
.LBB3_1537:
	s_or_b32 exec_lo, exec_lo, s10
	s_lshl_b64 s[8:9], s[8:9], 12
	v_mov_b32_e32 v4, 33
	v_add_co_u32 v2, vcc_lo, v2, s8
	v_add_co_ci_u32_e32 v3, vcc_lo, s9, v3, vcc_lo
	s_mov_b32 s8, 0
	v_add_co_u32 v10, vcc_lo, v2, v50
	s_mov_b32 s11, s8
	s_mov_b32 s9, s8
	;; [unrolled: 1-line block ×3, first 2 shown]
	v_mov_b32_e32 v6, v5
	v_mov_b32_e32 v7, v5
	v_readfirstlane_b32 s16, v2
	v_readfirstlane_b32 s17, v3
	v_mov_b32_e32 v15, s11
	v_add_co_ci_u32_e32 v11, vcc_lo, 0, v3, vcc_lo
	v_mov_b32_e32 v14, s10
	v_mov_b32_e32 v13, s9
	;; [unrolled: 1-line block ×3, first 2 shown]
	global_store_dwordx4 v50, v[4:7], s[16:17]
	global_store_dwordx4 v50, v[12:15], s[16:17] offset:16
	global_store_dwordx4 v50, v[12:15], s[16:17] offset:32
	;; [unrolled: 1-line block ×3, first 2 shown]
	s_and_saveexec_b32 s5, s4
	s_mov_b64 s[8:9], s[22:23]
	s_cbranch_execz .LBB3_1545
; %bb.1538:
	v_mov_b32_e32 v6, 0
	v_mov_b32_e32 v12, s6
	;; [unrolled: 1-line block ×3, first 2 shown]
	s_clause 0x1
	global_load_dwordx2 v[14:15], v6, s[38:39] offset:32 glc dlc
	global_load_dwordx2 v[2:3], v6, s[38:39] offset:40
	s_waitcnt vmcnt(0)
	v_readfirstlane_b32 s10, v2
	v_readfirstlane_b32 s11, v3
	s_and_b64 s[10:11], s[10:11], s[6:7]
	s_mul_i32 s11, s11, 24
	s_mul_hi_u32 s15, s10, 24
	s_mul_i32 s10, s10, 24
	s_add_i32 s15, s15, s11
	v_add_co_u32 v4, vcc_lo, v0, s10
	v_add_co_ci_u32_e32 v5, vcc_lo, s15, v1, vcc_lo
	s_mov_b32 s10, exec_lo
	global_store_dwordx2 v[4:5], v[14:15], off
	s_waitcnt_vscnt null, 0x0
	global_atomic_cmpswap_x2 v[2:3], v6, v[12:15], s[38:39] offset:32 glc
	s_waitcnt vmcnt(0)
	v_cmpx_ne_u64_e64 v[2:3], v[14:15]
	s_cbranch_execz .LBB3_1541
; %bb.1539:
	s_mov_b32 s11, 0
.LBB3_1540:                             ; =>This Inner Loop Header: Depth=1
	v_mov_b32_e32 v0, s6
	v_mov_b32_e32 v1, s7
	s_sleep 1
	global_store_dwordx2 v[4:5], v[2:3], off
	s_waitcnt_vscnt null, 0x0
	global_atomic_cmpswap_x2 v[0:1], v6, v[0:3], s[38:39] offset:32 glc
	s_waitcnt vmcnt(0)
	v_cmp_eq_u64_e32 vcc_lo, v[0:1], v[2:3]
	v_mov_b32_e32 v3, v1
	v_mov_b32_e32 v2, v0
	s_or_b32 s11, vcc_lo, s11
	s_andn2_b32 exec_lo, exec_lo, s11
	s_cbranch_execnz .LBB3_1540
.LBB3_1541:
	s_or_b32 exec_lo, exec_lo, s10
	v_mov_b32_e32 v3, 0
	s_mov_b32 s11, exec_lo
	s_mov_b32 s10, exec_lo
	v_mbcnt_lo_u32_b32 v2, s11, 0
	global_load_dwordx2 v[0:1], v3, s[38:39] offset:16
	v_cmpx_eq_u32_e32 0, v2
	s_cbranch_execz .LBB3_1543
; %bb.1542:
	s_bcnt1_i32_b32 s11, s11
	v_mov_b32_e32 v2, s11
	s_waitcnt vmcnt(0)
	global_atomic_add_x2 v[0:1], v[2:3], off offset:8
.LBB3_1543:
	s_or_b32 exec_lo, exec_lo, s10
	s_waitcnt vmcnt(0)
	global_load_dwordx2 v[2:3], v[0:1], off offset:16
	s_waitcnt vmcnt(0)
	v_cmp_eq_u64_e32 vcc_lo, 0, v[2:3]
	s_cbranch_vccnz .LBB3_1545
; %bb.1544:
	global_load_dword v0, v[0:1], off offset:24
	v_mov_b32_e32 v1, 0
	s_waitcnt vmcnt(0)
	v_and_b32_e32 v4, 0x7fffff, v0
	s_waitcnt_vscnt null, 0x0
	global_store_dwordx2 v[2:3], v[0:1], off
	v_readfirstlane_b32 m0, v4
	s_sendmsg sendmsg(MSG_INTERRUPT)
.LBB3_1545:
	s_or_b32 exec_lo, exec_lo, s5
	s_branch .LBB3_1549
	.p2align	6
.LBB3_1546:                             ;   in Loop: Header=BB3_1549 Depth=1
	s_or_b32 exec_lo, exec_lo, s5
	v_readfirstlane_b32 s5, v0
	s_cmp_eq_u32 s5, 0
	s_cbranch_scc1 .LBB3_1548
; %bb.1547:                             ;   in Loop: Header=BB3_1549 Depth=1
	s_sleep 1
	s_cbranch_execnz .LBB3_1549
	s_branch .LBB3_1551
	.p2align	6
.LBB3_1548:
	s_branch .LBB3_1551
.LBB3_1549:                             ; =>This Inner Loop Header: Depth=1
	v_mov_b32_e32 v0, 1
	s_and_saveexec_b32 s5, s4
	s_cbranch_execz .LBB3_1546
; %bb.1550:                             ;   in Loop: Header=BB3_1549 Depth=1
	global_load_dword v0, v[8:9], off offset:20 glc dlc
	s_waitcnt vmcnt(0)
	buffer_gl1_inv
	buffer_gl0_inv
	v_and_b32_e32 v0, 1, v0
	s_branch .LBB3_1546
.LBB3_1551:
	global_load_dwordx2 v[0:1], v[10:11], off
	s_and_saveexec_b32 s5, s4
	s_cbranch_execz .LBB3_1555
; %bb.1552:
	v_mov_b32_e32 v8, 0
	s_clause 0x2
	global_load_dwordx2 v[4:5], v8, s[38:39] offset:40
	global_load_dwordx2 v[9:10], v8, s[38:39] offset:24 glc dlc
	global_load_dwordx2 v[6:7], v8, s[38:39]
	s_waitcnt vmcnt(2)
	v_add_co_u32 v11, vcc_lo, v4, 1
	v_add_co_ci_u32_e32 v12, vcc_lo, 0, v5, vcc_lo
	v_add_co_u32 v2, vcc_lo, v11, s6
	v_add_co_ci_u32_e32 v3, vcc_lo, s7, v12, vcc_lo
	v_cmp_eq_u64_e32 vcc_lo, 0, v[2:3]
	v_cndmask_b32_e32 v3, v3, v12, vcc_lo
	v_cndmask_b32_e32 v2, v2, v11, vcc_lo
	v_and_b32_e32 v5, v3, v5
	v_and_b32_e32 v4, v2, v4
	v_mul_lo_u32 v5, v5, 24
	v_mul_hi_u32 v11, v4, 24
	v_mul_lo_u32 v4, v4, 24
	v_add_nc_u32_e32 v5, v11, v5
	s_waitcnt vmcnt(0)
	v_add_co_u32 v6, vcc_lo, v6, v4
	v_mov_b32_e32 v4, v9
	v_add_co_ci_u32_e32 v7, vcc_lo, v7, v5, vcc_lo
	v_mov_b32_e32 v5, v10
	global_store_dwordx2 v[6:7], v[9:10], off
	s_waitcnt_vscnt null, 0x0
	global_atomic_cmpswap_x2 v[4:5], v8, v[2:5], s[38:39] offset:24 glc
	s_waitcnt vmcnt(0)
	v_cmp_ne_u64_e32 vcc_lo, v[4:5], v[9:10]
	s_and_b32 exec_lo, exec_lo, vcc_lo
	s_cbranch_execz .LBB3_1555
; %bb.1553:
	s_mov_b32 s4, 0
.LBB3_1554:                             ; =>This Inner Loop Header: Depth=1
	s_sleep 1
	global_store_dwordx2 v[6:7], v[4:5], off
	s_waitcnt_vscnt null, 0x0
	global_atomic_cmpswap_x2 v[9:10], v8, v[2:5], s[38:39] offset:24 glc
	s_waitcnt vmcnt(0)
	v_cmp_eq_u64_e32 vcc_lo, v[9:10], v[4:5]
	v_mov_b32_e32 v4, v9
	v_mov_b32_e32 v5, v10
	s_or_b32 s4, vcc_lo, s4
	s_andn2_b32 exec_lo, exec_lo, s4
	s_cbranch_execnz .LBB3_1554
.LBB3_1555:
	s_or_b32 exec_lo, exec_lo, s5
	s_and_b32 vcc_lo, exec_lo, s42
	s_cbranch_vccz .LBB3_1634
; %bb.1556:
	s_waitcnt vmcnt(0)
	v_and_b32_e32 v31, 2, v0
	v_mov_b32_e32 v6, 0
	v_and_b32_e32 v2, -3, v0
	v_mov_b32_e32 v3, v1
	v_mov_b32_e32 v7, 2
	;; [unrolled: 1-line block ×3, first 2 shown]
	s_mov_b64 s[10:11], 3
	s_getpc_b64 s[6:7]
	s_add_u32 s6, s6, .str.9@rel32@lo+4
	s_addc_u32 s7, s7, .str.9@rel32@hi+12
	s_branch .LBB3_1558
.LBB3_1557:                             ;   in Loop: Header=BB3_1558 Depth=1
	s_or_b32 exec_lo, exec_lo, s5
	s_sub_u32 s10, s10, s16
	s_subb_u32 s11, s11, s17
	s_add_u32 s6, s6, s16
	s_addc_u32 s7, s7, s17
	s_cmp_lg_u64 s[10:11], 0
	s_cbranch_scc0 .LBB3_1633
.LBB3_1558:                             ; =>This Loop Header: Depth=1
                                        ;     Child Loop BB3_1567 Depth 2
                                        ;     Child Loop BB3_1563 Depth 2
	;; [unrolled: 1-line block ×11, first 2 shown]
	v_cmp_lt_u64_e64 s4, s[10:11], 56
	v_cmp_gt_u64_e64 s5, s[10:11], 7
                                        ; implicit-def: $vgpr11_vgpr12
                                        ; implicit-def: $sgpr15
	s_and_b32 s4, s4, exec_lo
	s_cselect_b32 s17, s11, 0
	s_cselect_b32 s16, s10, 56
	s_and_b32 vcc_lo, exec_lo, s5
	s_mov_b32 s4, -1
	s_cbranch_vccz .LBB3_1565
; %bb.1559:                             ;   in Loop: Header=BB3_1558 Depth=1
	s_andn2_b32 vcc_lo, exec_lo, s4
	s_mov_b64 s[4:5], s[6:7]
	s_cbranch_vccz .LBB3_1569
.LBB3_1560:                             ;   in Loop: Header=BB3_1558 Depth=1
	s_cmp_gt_u32 s15, 7
	s_cbranch_scc1 .LBB3_1570
.LBB3_1561:                             ;   in Loop: Header=BB3_1558 Depth=1
	v_mov_b32_e32 v13, 0
	v_mov_b32_e32 v14, 0
	s_cmp_eq_u32 s15, 0
	s_cbranch_scc1 .LBB3_1564
; %bb.1562:                             ;   in Loop: Header=BB3_1558 Depth=1
	s_mov_b64 s[18:19], 0
	s_mov_b64 s[20:21], 0
.LBB3_1563:                             ;   Parent Loop BB3_1558 Depth=1
                                        ; =>  This Inner Loop Header: Depth=2
	s_add_u32 s22, s4, s20
	s_addc_u32 s23, s5, s21
	s_add_u32 s20, s20, 1
	global_load_ubyte v4, v6, s[22:23]
	s_addc_u32 s21, s21, 0
	s_waitcnt vmcnt(0)
	v_and_b32_e32 v5, 0xffff, v4
	v_lshlrev_b64 v[4:5], s18, v[5:6]
	s_add_u32 s18, s18, 8
	s_addc_u32 s19, s19, 0
	s_cmp_lg_u32 s15, s20
	v_or_b32_e32 v13, v4, v13
	v_or_b32_e32 v14, v5, v14
	s_cbranch_scc1 .LBB3_1563
.LBB3_1564:                             ;   in Loop: Header=BB3_1558 Depth=1
	s_mov_b32 s22, 0
	s_cbranch_execz .LBB3_1571
	s_branch .LBB3_1572
.LBB3_1565:                             ;   in Loop: Header=BB3_1558 Depth=1
	v_mov_b32_e32 v11, 0
	v_mov_b32_e32 v12, 0
	s_cmp_eq_u64 s[10:11], 0
	s_mov_b64 s[4:5], 0
	s_cbranch_scc1 .LBB3_1568
; %bb.1566:                             ;   in Loop: Header=BB3_1558 Depth=1
	v_mov_b32_e32 v11, 0
	v_mov_b32_e32 v12, 0
	s_lshl_b64 s[18:19], s[16:17], 3
	s_mov_b64 s[20:21], s[6:7]
.LBB3_1567:                             ;   Parent Loop BB3_1558 Depth=1
                                        ; =>  This Inner Loop Header: Depth=2
	global_load_ubyte v4, v6, s[20:21]
	s_waitcnt vmcnt(0)
	v_and_b32_e32 v5, 0xffff, v4
	v_lshlrev_b64 v[4:5], s4, v[5:6]
	s_add_u32 s4, s4, 8
	s_addc_u32 s5, s5, 0
	s_add_u32 s20, s20, 1
	s_addc_u32 s21, s21, 0
	s_cmp_lg_u32 s18, s4
	v_or_b32_e32 v11, v4, v11
	v_or_b32_e32 v12, v5, v12
	s_cbranch_scc1 .LBB3_1567
.LBB3_1568:                             ;   in Loop: Header=BB3_1558 Depth=1
	s_mov_b32 s15, 0
	s_mov_b64 s[4:5], s[6:7]
	s_cbranch_execnz .LBB3_1560
.LBB3_1569:                             ;   in Loop: Header=BB3_1558 Depth=1
	global_load_dwordx2 v[11:12], v6, s[6:7]
	s_add_i32 s15, s16, -8
	s_add_u32 s4, s6, 8
	s_addc_u32 s5, s7, 0
	s_cmp_gt_u32 s15, 7
	s_cbranch_scc0 .LBB3_1561
.LBB3_1570:                             ;   in Loop: Header=BB3_1558 Depth=1
                                        ; implicit-def: $vgpr13_vgpr14
                                        ; implicit-def: $sgpr22
.LBB3_1571:                             ;   in Loop: Header=BB3_1558 Depth=1
	global_load_dwordx2 v[13:14], v6, s[4:5]
	s_add_i32 s22, s15, -8
	s_add_u32 s4, s4, 8
	s_addc_u32 s5, s5, 0
.LBB3_1572:                             ;   in Loop: Header=BB3_1558 Depth=1
	s_cmp_gt_u32 s22, 7
	s_cbranch_scc1 .LBB3_1577
; %bb.1573:                             ;   in Loop: Header=BB3_1558 Depth=1
	v_mov_b32_e32 v15, 0
	v_mov_b32_e32 v16, 0
	s_cmp_eq_u32 s22, 0
	s_cbranch_scc1 .LBB3_1576
; %bb.1574:                             ;   in Loop: Header=BB3_1558 Depth=1
	s_mov_b64 s[18:19], 0
	s_mov_b64 s[20:21], 0
.LBB3_1575:                             ;   Parent Loop BB3_1558 Depth=1
                                        ; =>  This Inner Loop Header: Depth=2
	s_add_u32 s24, s4, s20
	s_addc_u32 s25, s5, s21
	s_add_u32 s20, s20, 1
	global_load_ubyte v4, v6, s[24:25]
	s_addc_u32 s21, s21, 0
	s_waitcnt vmcnt(0)
	v_and_b32_e32 v5, 0xffff, v4
	v_lshlrev_b64 v[4:5], s18, v[5:6]
	s_add_u32 s18, s18, 8
	s_addc_u32 s19, s19, 0
	s_cmp_lg_u32 s22, s20
	v_or_b32_e32 v15, v4, v15
	v_or_b32_e32 v16, v5, v16
	s_cbranch_scc1 .LBB3_1575
.LBB3_1576:                             ;   in Loop: Header=BB3_1558 Depth=1
	s_mov_b32 s15, 0
	s_cbranch_execz .LBB3_1578
	s_branch .LBB3_1579
.LBB3_1577:                             ;   in Loop: Header=BB3_1558 Depth=1
                                        ; implicit-def: $sgpr15
.LBB3_1578:                             ;   in Loop: Header=BB3_1558 Depth=1
	global_load_dwordx2 v[15:16], v6, s[4:5]
	s_add_i32 s15, s22, -8
	s_add_u32 s4, s4, 8
	s_addc_u32 s5, s5, 0
.LBB3_1579:                             ;   in Loop: Header=BB3_1558 Depth=1
	s_cmp_gt_u32 s15, 7
	s_cbranch_scc1 .LBB3_1584
; %bb.1580:                             ;   in Loop: Header=BB3_1558 Depth=1
	v_mov_b32_e32 v17, 0
	v_mov_b32_e32 v18, 0
	s_cmp_eq_u32 s15, 0
	s_cbranch_scc1 .LBB3_1583
; %bb.1581:                             ;   in Loop: Header=BB3_1558 Depth=1
	s_mov_b64 s[18:19], 0
	s_mov_b64 s[20:21], 0
.LBB3_1582:                             ;   Parent Loop BB3_1558 Depth=1
                                        ; =>  This Inner Loop Header: Depth=2
	s_add_u32 s22, s4, s20
	s_addc_u32 s23, s5, s21
	s_add_u32 s20, s20, 1
	global_load_ubyte v4, v6, s[22:23]
	s_addc_u32 s21, s21, 0
	s_waitcnt vmcnt(0)
	v_and_b32_e32 v5, 0xffff, v4
	v_lshlrev_b64 v[4:5], s18, v[5:6]
	s_add_u32 s18, s18, 8
	s_addc_u32 s19, s19, 0
	s_cmp_lg_u32 s15, s20
	v_or_b32_e32 v17, v4, v17
	v_or_b32_e32 v18, v5, v18
	s_cbranch_scc1 .LBB3_1582
.LBB3_1583:                             ;   in Loop: Header=BB3_1558 Depth=1
	s_mov_b32 s22, 0
	s_cbranch_execz .LBB3_1585
	s_branch .LBB3_1586
.LBB3_1584:                             ;   in Loop: Header=BB3_1558 Depth=1
                                        ; implicit-def: $vgpr17_vgpr18
                                        ; implicit-def: $sgpr22
.LBB3_1585:                             ;   in Loop: Header=BB3_1558 Depth=1
	global_load_dwordx2 v[17:18], v6, s[4:5]
	s_add_i32 s22, s15, -8
	s_add_u32 s4, s4, 8
	s_addc_u32 s5, s5, 0
.LBB3_1586:                             ;   in Loop: Header=BB3_1558 Depth=1
	s_cmp_gt_u32 s22, 7
	s_cbranch_scc1 .LBB3_1591
; %bb.1587:                             ;   in Loop: Header=BB3_1558 Depth=1
	v_mov_b32_e32 v19, 0
	v_mov_b32_e32 v20, 0
	s_cmp_eq_u32 s22, 0
	s_cbranch_scc1 .LBB3_1590
; %bb.1588:                             ;   in Loop: Header=BB3_1558 Depth=1
	s_mov_b64 s[18:19], 0
	s_mov_b64 s[20:21], 0
.LBB3_1589:                             ;   Parent Loop BB3_1558 Depth=1
                                        ; =>  This Inner Loop Header: Depth=2
	s_add_u32 s24, s4, s20
	s_addc_u32 s25, s5, s21
	s_add_u32 s20, s20, 1
	global_load_ubyte v4, v6, s[24:25]
	s_addc_u32 s21, s21, 0
	s_waitcnt vmcnt(0)
	v_and_b32_e32 v5, 0xffff, v4
	v_lshlrev_b64 v[4:5], s18, v[5:6]
	s_add_u32 s18, s18, 8
	s_addc_u32 s19, s19, 0
	s_cmp_lg_u32 s22, s20
	v_or_b32_e32 v19, v4, v19
	v_or_b32_e32 v20, v5, v20
	s_cbranch_scc1 .LBB3_1589
.LBB3_1590:                             ;   in Loop: Header=BB3_1558 Depth=1
	s_mov_b32 s15, 0
	s_cbranch_execz .LBB3_1592
	s_branch .LBB3_1593
.LBB3_1591:                             ;   in Loop: Header=BB3_1558 Depth=1
                                        ; implicit-def: $sgpr15
.LBB3_1592:                             ;   in Loop: Header=BB3_1558 Depth=1
	global_load_dwordx2 v[19:20], v6, s[4:5]
	s_add_i32 s15, s22, -8
	s_add_u32 s4, s4, 8
	s_addc_u32 s5, s5, 0
.LBB3_1593:                             ;   in Loop: Header=BB3_1558 Depth=1
	s_cmp_gt_u32 s15, 7
	s_cbranch_scc1 .LBB3_1598
; %bb.1594:                             ;   in Loop: Header=BB3_1558 Depth=1
	v_mov_b32_e32 v21, 0
	v_mov_b32_e32 v22, 0
	s_cmp_eq_u32 s15, 0
	s_cbranch_scc1 .LBB3_1597
; %bb.1595:                             ;   in Loop: Header=BB3_1558 Depth=1
	s_mov_b64 s[18:19], 0
	s_mov_b64 s[20:21], 0
.LBB3_1596:                             ;   Parent Loop BB3_1558 Depth=1
                                        ; =>  This Inner Loop Header: Depth=2
	s_add_u32 s22, s4, s20
	s_addc_u32 s23, s5, s21
	s_add_u32 s20, s20, 1
	global_load_ubyte v4, v6, s[22:23]
	s_addc_u32 s21, s21, 0
	s_waitcnt vmcnt(0)
	v_and_b32_e32 v5, 0xffff, v4
	v_lshlrev_b64 v[4:5], s18, v[5:6]
	s_add_u32 s18, s18, 8
	s_addc_u32 s19, s19, 0
	s_cmp_lg_u32 s15, s20
	v_or_b32_e32 v21, v4, v21
	v_or_b32_e32 v22, v5, v22
	s_cbranch_scc1 .LBB3_1596
.LBB3_1597:                             ;   in Loop: Header=BB3_1558 Depth=1
	s_mov_b32 s22, 0
	s_cbranch_execz .LBB3_1599
	s_branch .LBB3_1600
.LBB3_1598:                             ;   in Loop: Header=BB3_1558 Depth=1
                                        ; implicit-def: $vgpr21_vgpr22
                                        ; implicit-def: $sgpr22
.LBB3_1599:                             ;   in Loop: Header=BB3_1558 Depth=1
	global_load_dwordx2 v[21:22], v6, s[4:5]
	s_add_i32 s22, s15, -8
	s_add_u32 s4, s4, 8
	s_addc_u32 s5, s5, 0
.LBB3_1600:                             ;   in Loop: Header=BB3_1558 Depth=1
	s_cmp_gt_u32 s22, 7
	s_cbranch_scc1 .LBB3_1605
; %bb.1601:                             ;   in Loop: Header=BB3_1558 Depth=1
	v_mov_b32_e32 v23, 0
	v_mov_b32_e32 v24, 0
	s_cmp_eq_u32 s22, 0
	s_cbranch_scc1 .LBB3_1604
; %bb.1602:                             ;   in Loop: Header=BB3_1558 Depth=1
	s_mov_b64 s[18:19], 0
	s_mov_b64 s[20:21], s[4:5]
.LBB3_1603:                             ;   Parent Loop BB3_1558 Depth=1
                                        ; =>  This Inner Loop Header: Depth=2
	global_load_ubyte v4, v6, s[20:21]
	s_add_i32 s22, s22, -1
	s_waitcnt vmcnt(0)
	v_and_b32_e32 v5, 0xffff, v4
	v_lshlrev_b64 v[4:5], s18, v[5:6]
	s_add_u32 s18, s18, 8
	s_addc_u32 s19, s19, 0
	s_add_u32 s20, s20, 1
	s_addc_u32 s21, s21, 0
	s_cmp_lg_u32 s22, 0
	v_or_b32_e32 v23, v4, v23
	v_or_b32_e32 v24, v5, v24
	s_cbranch_scc1 .LBB3_1603
.LBB3_1604:                             ;   in Loop: Header=BB3_1558 Depth=1
	s_cbranch_execz .LBB3_1606
	s_branch .LBB3_1607
.LBB3_1605:                             ;   in Loop: Header=BB3_1558 Depth=1
.LBB3_1606:                             ;   in Loop: Header=BB3_1558 Depth=1
	global_load_dwordx2 v[23:24], v6, s[4:5]
.LBB3_1607:                             ;   in Loop: Header=BB3_1558 Depth=1
	v_readfirstlane_b32 s4, v51
	s_waitcnt vmcnt(0)
	v_mov_b32_e32 v4, 0
	v_mov_b32_e32 v5, 0
	v_cmp_eq_u32_e64 s4, s4, v51
	s_and_saveexec_b32 s5, s4
	s_cbranch_execz .LBB3_1613
; %bb.1608:                             ;   in Loop: Header=BB3_1558 Depth=1
	global_load_dwordx2 v[27:28], v6, s[38:39] offset:24 glc dlc
	s_waitcnt vmcnt(0)
	buffer_gl1_inv
	buffer_gl0_inv
	s_clause 0x1
	global_load_dwordx2 v[4:5], v6, s[38:39] offset:40
	global_load_dwordx2 v[9:10], v6, s[38:39]
	s_mov_b32 s15, exec_lo
	s_waitcnt vmcnt(1)
	v_and_b32_e32 v5, v5, v28
	v_and_b32_e32 v4, v4, v27
	v_mul_lo_u32 v5, v5, 24
	v_mul_hi_u32 v25, v4, 24
	v_mul_lo_u32 v4, v4, 24
	v_add_nc_u32_e32 v5, v25, v5
	s_waitcnt vmcnt(0)
	v_add_co_u32 v4, vcc_lo, v9, v4
	v_add_co_ci_u32_e32 v5, vcc_lo, v10, v5, vcc_lo
	global_load_dwordx2 v[25:26], v[4:5], off glc dlc
	s_waitcnt vmcnt(0)
	global_atomic_cmpswap_x2 v[4:5], v6, v[25:28], s[38:39] offset:24 glc
	s_waitcnt vmcnt(0)
	buffer_gl1_inv
	buffer_gl0_inv
	v_cmpx_ne_u64_e64 v[4:5], v[27:28]
	s_cbranch_execz .LBB3_1612
; %bb.1609:                             ;   in Loop: Header=BB3_1558 Depth=1
	s_mov_b32 s18, 0
	.p2align	6
.LBB3_1610:                             ;   Parent Loop BB3_1558 Depth=1
                                        ; =>  This Inner Loop Header: Depth=2
	s_sleep 1
	s_clause 0x1
	global_load_dwordx2 v[9:10], v6, s[38:39] offset:40
	global_load_dwordx2 v[25:26], v6, s[38:39]
	v_mov_b32_e32 v28, v5
	v_mov_b32_e32 v27, v4
	s_waitcnt vmcnt(1)
	v_and_b32_e32 v4, v9, v27
	v_and_b32_e32 v9, v10, v28
	s_waitcnt vmcnt(0)
	v_mad_u64_u32 v[4:5], null, v4, 24, v[25:26]
	v_mad_u64_u32 v[9:10], null, v9, 24, v[5:6]
	v_mov_b32_e32 v5, v9
	global_load_dwordx2 v[25:26], v[4:5], off glc dlc
	s_waitcnt vmcnt(0)
	global_atomic_cmpswap_x2 v[4:5], v6, v[25:28], s[38:39] offset:24 glc
	s_waitcnt vmcnt(0)
	buffer_gl1_inv
	buffer_gl0_inv
	v_cmp_eq_u64_e32 vcc_lo, v[4:5], v[27:28]
	s_or_b32 s18, vcc_lo, s18
	s_andn2_b32 exec_lo, exec_lo, s18
	s_cbranch_execnz .LBB3_1610
; %bb.1611:                             ;   in Loop: Header=BB3_1558 Depth=1
	s_or_b32 exec_lo, exec_lo, s18
.LBB3_1612:                             ;   in Loop: Header=BB3_1558 Depth=1
	s_or_b32 exec_lo, exec_lo, s15
.LBB3_1613:                             ;   in Loop: Header=BB3_1558 Depth=1
	s_or_b32 exec_lo, exec_lo, s5
	s_clause 0x1
	global_load_dwordx2 v[9:10], v6, s[38:39] offset:40
	global_load_dwordx4 v[25:28], v6, s[38:39]
	v_readfirstlane_b32 s18, v4
	v_readfirstlane_b32 s19, v5
	s_mov_b32 s5, exec_lo
	s_waitcnt vmcnt(1)
	v_readfirstlane_b32 s20, v9
	v_readfirstlane_b32 s21, v10
	s_and_b64 s[20:21], s[18:19], s[20:21]
	s_mul_i32 s15, s21, 24
	s_mul_hi_u32 s22, s20, 24
	s_mul_i32 s23, s20, 24
	s_add_i32 s22, s22, s15
	s_waitcnt vmcnt(0)
	v_add_co_u32 v29, vcc_lo, v25, s23
	v_add_co_ci_u32_e32 v30, vcc_lo, s22, v26, vcc_lo
	s_and_saveexec_b32 s15, s4
	s_cbranch_execz .LBB3_1615
; %bb.1614:                             ;   in Loop: Header=BB3_1558 Depth=1
	v_mov_b32_e32 v5, s5
	global_store_dwordx4 v[29:30], v[5:8], off offset:8
.LBB3_1615:                             ;   in Loop: Header=BB3_1558 Depth=1
	s_or_b32 exec_lo, exec_lo, s15
	s_lshl_b64 s[20:21], s[20:21], 12
	v_cmp_gt_u64_e64 vcc_lo, s[10:11], 56
	v_or_b32_e32 v5, v2, v31
	v_add_co_u32 v27, s5, v27, s20
	v_add_co_ci_u32_e64 v28, s5, s21, v28, s5
	s_lshl_b32 s5, s16, 2
	v_or_b32_e32 v4, 0, v3
	v_cndmask_b32_e32 v2, v5, v2, vcc_lo
	s_add_i32 s5, s5, 28
	v_readfirstlane_b32 s20, v27
	s_and_b32 s5, s5, 0x1e0
	v_cndmask_b32_e32 v10, v4, v3, vcc_lo
	v_readfirstlane_b32 s21, v28
	v_and_or_b32 v9, 0xffffff1f, v2, s5
	global_store_dwordx4 v50, v[9:12], s[20:21]
	global_store_dwordx4 v50, v[13:16], s[20:21] offset:16
	global_store_dwordx4 v50, v[17:20], s[20:21] offset:32
	;; [unrolled: 1-line block ×3, first 2 shown]
	s_and_saveexec_b32 s5, s4
	s_cbranch_execz .LBB3_1623
; %bb.1616:                             ;   in Loop: Header=BB3_1558 Depth=1
	s_clause 0x1
	global_load_dwordx2 v[13:14], v6, s[38:39] offset:32 glc dlc
	global_load_dwordx2 v[2:3], v6, s[38:39] offset:40
	v_mov_b32_e32 v11, s18
	v_mov_b32_e32 v12, s19
	s_waitcnt vmcnt(0)
	v_readfirstlane_b32 s20, v2
	v_readfirstlane_b32 s21, v3
	s_and_b64 s[20:21], s[20:21], s[18:19]
	s_mul_i32 s15, s21, 24
	s_mul_hi_u32 s21, s20, 24
	s_mul_i32 s20, s20, 24
	s_add_i32 s21, s21, s15
	v_add_co_u32 v9, vcc_lo, v25, s20
	v_add_co_ci_u32_e32 v10, vcc_lo, s21, v26, vcc_lo
	s_mov_b32 s15, exec_lo
	global_store_dwordx2 v[9:10], v[13:14], off
	s_waitcnt_vscnt null, 0x0
	global_atomic_cmpswap_x2 v[4:5], v6, v[11:14], s[38:39] offset:32 glc
	s_waitcnt vmcnt(0)
	v_cmpx_ne_u64_e64 v[4:5], v[13:14]
	s_cbranch_execz .LBB3_1619
; %bb.1617:                             ;   in Loop: Header=BB3_1558 Depth=1
	s_mov_b32 s20, 0
.LBB3_1618:                             ;   Parent Loop BB3_1558 Depth=1
                                        ; =>  This Inner Loop Header: Depth=2
	v_mov_b32_e32 v2, s18
	v_mov_b32_e32 v3, s19
	s_sleep 1
	global_store_dwordx2 v[9:10], v[4:5], off
	s_waitcnt_vscnt null, 0x0
	global_atomic_cmpswap_x2 v[2:3], v6, v[2:5], s[38:39] offset:32 glc
	s_waitcnt vmcnt(0)
	v_cmp_eq_u64_e32 vcc_lo, v[2:3], v[4:5]
	v_mov_b32_e32 v5, v3
	v_mov_b32_e32 v4, v2
	s_or_b32 s20, vcc_lo, s20
	s_andn2_b32 exec_lo, exec_lo, s20
	s_cbranch_execnz .LBB3_1618
.LBB3_1619:                             ;   in Loop: Header=BB3_1558 Depth=1
	s_or_b32 exec_lo, exec_lo, s15
	global_load_dwordx2 v[2:3], v6, s[38:39] offset:16
	s_mov_b32 s20, exec_lo
	s_mov_b32 s15, exec_lo
	v_mbcnt_lo_u32_b32 v4, s20, 0
	v_cmpx_eq_u32_e32 0, v4
	s_cbranch_execz .LBB3_1621
; %bb.1620:                             ;   in Loop: Header=BB3_1558 Depth=1
	s_bcnt1_i32_b32 s20, s20
	v_mov_b32_e32 v5, s20
	s_waitcnt vmcnt(0)
	global_atomic_add_x2 v[2:3], v[5:6], off offset:8
.LBB3_1621:                             ;   in Loop: Header=BB3_1558 Depth=1
	s_or_b32 exec_lo, exec_lo, s15
	s_waitcnt vmcnt(0)
	global_load_dwordx2 v[9:10], v[2:3], off offset:16
	s_waitcnt vmcnt(0)
	v_cmp_eq_u64_e32 vcc_lo, 0, v[9:10]
	s_cbranch_vccnz .LBB3_1623
; %bb.1622:                             ;   in Loop: Header=BB3_1558 Depth=1
	global_load_dword v5, v[2:3], off offset:24
	s_waitcnt vmcnt(0)
	v_and_b32_e32 v2, 0x7fffff, v5
	s_waitcnt_vscnt null, 0x0
	global_store_dwordx2 v[9:10], v[5:6], off
	v_readfirstlane_b32 m0, v2
	s_sendmsg sendmsg(MSG_INTERRUPT)
.LBB3_1623:                             ;   in Loop: Header=BB3_1558 Depth=1
	s_or_b32 exec_lo, exec_lo, s5
	v_add_co_u32 v2, vcc_lo, v27, v50
	v_add_co_ci_u32_e32 v3, vcc_lo, 0, v28, vcc_lo
	s_branch .LBB3_1627
	.p2align	6
.LBB3_1624:                             ;   in Loop: Header=BB3_1627 Depth=2
	s_or_b32 exec_lo, exec_lo, s5
	v_readfirstlane_b32 s5, v4
	s_cmp_eq_u32 s5, 0
	s_cbranch_scc1 .LBB3_1626
; %bb.1625:                             ;   in Loop: Header=BB3_1627 Depth=2
	s_sleep 1
	s_cbranch_execnz .LBB3_1627
	s_branch .LBB3_1629
	.p2align	6
.LBB3_1626:                             ;   in Loop: Header=BB3_1558 Depth=1
	s_branch .LBB3_1629
.LBB3_1627:                             ;   Parent Loop BB3_1558 Depth=1
                                        ; =>  This Inner Loop Header: Depth=2
	v_mov_b32_e32 v4, 1
	s_and_saveexec_b32 s5, s4
	s_cbranch_execz .LBB3_1624
; %bb.1628:                             ;   in Loop: Header=BB3_1627 Depth=2
	global_load_dword v4, v[29:30], off offset:20 glc dlc
	s_waitcnt vmcnt(0)
	buffer_gl1_inv
	buffer_gl0_inv
	v_and_b32_e32 v4, 1, v4
	s_branch .LBB3_1624
.LBB3_1629:                             ;   in Loop: Header=BB3_1558 Depth=1
	global_load_dwordx4 v[2:5], v[2:3], off
	s_and_saveexec_b32 s5, s4
	s_cbranch_execz .LBB3_1557
; %bb.1630:                             ;   in Loop: Header=BB3_1558 Depth=1
	s_clause 0x2
	global_load_dwordx2 v[4:5], v6, s[38:39] offset:40
	global_load_dwordx2 v[13:14], v6, s[38:39] offset:24 glc dlc
	global_load_dwordx2 v[11:12], v6, s[38:39]
	s_waitcnt vmcnt(2)
	v_add_co_u32 v15, vcc_lo, v4, 1
	v_add_co_ci_u32_e32 v16, vcc_lo, 0, v5, vcc_lo
	v_add_co_u32 v9, vcc_lo, v15, s18
	v_add_co_ci_u32_e32 v10, vcc_lo, s19, v16, vcc_lo
	v_cmp_eq_u64_e32 vcc_lo, 0, v[9:10]
	v_cndmask_b32_e32 v10, v10, v16, vcc_lo
	v_cndmask_b32_e32 v9, v9, v15, vcc_lo
	v_and_b32_e32 v5, v10, v5
	v_and_b32_e32 v4, v9, v4
	v_mul_lo_u32 v5, v5, 24
	v_mul_hi_u32 v15, v4, 24
	v_mul_lo_u32 v4, v4, 24
	v_add_nc_u32_e32 v5, v15, v5
	s_waitcnt vmcnt(0)
	v_add_co_u32 v4, vcc_lo, v11, v4
	v_mov_b32_e32 v11, v13
	v_add_co_ci_u32_e32 v5, vcc_lo, v12, v5, vcc_lo
	v_mov_b32_e32 v12, v14
	global_store_dwordx2 v[4:5], v[13:14], off
	s_waitcnt_vscnt null, 0x0
	global_atomic_cmpswap_x2 v[11:12], v6, v[9:12], s[38:39] offset:24 glc
	s_waitcnt vmcnt(0)
	v_cmp_ne_u64_e32 vcc_lo, v[11:12], v[13:14]
	s_and_b32 exec_lo, exec_lo, vcc_lo
	s_cbranch_execz .LBB3_1557
; %bb.1631:                             ;   in Loop: Header=BB3_1558 Depth=1
	s_mov_b32 s4, 0
.LBB3_1632:                             ;   Parent Loop BB3_1558 Depth=1
                                        ; =>  This Inner Loop Header: Depth=2
	s_sleep 1
	global_store_dwordx2 v[4:5], v[11:12], off
	s_waitcnt_vscnt null, 0x0
	global_atomic_cmpswap_x2 v[13:14], v6, v[9:12], s[38:39] offset:24 glc
	s_waitcnt vmcnt(0)
	v_cmp_eq_u64_e32 vcc_lo, v[13:14], v[11:12]
	v_mov_b32_e32 v11, v13
	v_mov_b32_e32 v12, v14
	s_or_b32 s4, vcc_lo, s4
	s_andn2_b32 exec_lo, exec_lo, s4
	s_cbranch_execnz .LBB3_1632
	s_branch .LBB3_1557
.LBB3_1633:
	s_branch .LBB3_1662
.LBB3_1634:
                                        ; implicit-def: $vgpr2_vgpr3
	s_cbranch_execz .LBB3_1662
; %bb.1635:
	v_readfirstlane_b32 s4, v51
	v_mov_b32_e32 v8, 0
	v_mov_b32_e32 v9, 0
	v_cmp_eq_u32_e64 s4, s4, v51
	s_and_saveexec_b32 s5, s4
	s_cbranch_execz .LBB3_1641
; %bb.1636:
	s_waitcnt vmcnt(0)
	v_mov_b32_e32 v2, 0
	s_mov_b32 s6, exec_lo
	global_load_dwordx2 v[5:6], v2, s[38:39] offset:24 glc dlc
	s_waitcnt vmcnt(0)
	buffer_gl1_inv
	buffer_gl0_inv
	s_clause 0x1
	global_load_dwordx2 v[3:4], v2, s[38:39] offset:40
	global_load_dwordx2 v[7:8], v2, s[38:39]
	s_waitcnt vmcnt(1)
	v_and_b32_e32 v4, v4, v6
	v_and_b32_e32 v3, v3, v5
	v_mul_lo_u32 v4, v4, 24
	v_mul_hi_u32 v9, v3, 24
	v_mul_lo_u32 v3, v3, 24
	v_add_nc_u32_e32 v4, v9, v4
	s_waitcnt vmcnt(0)
	v_add_co_u32 v3, vcc_lo, v7, v3
	v_add_co_ci_u32_e32 v4, vcc_lo, v8, v4, vcc_lo
	global_load_dwordx2 v[3:4], v[3:4], off glc dlc
	s_waitcnt vmcnt(0)
	global_atomic_cmpswap_x2 v[8:9], v2, v[3:6], s[38:39] offset:24 glc
	s_waitcnt vmcnt(0)
	buffer_gl1_inv
	buffer_gl0_inv
	v_cmpx_ne_u64_e64 v[8:9], v[5:6]
	s_cbranch_execz .LBB3_1640
; %bb.1637:
	s_mov_b32 s7, 0
	.p2align	6
.LBB3_1638:                             ; =>This Inner Loop Header: Depth=1
	s_sleep 1
	s_clause 0x1
	global_load_dwordx2 v[3:4], v2, s[38:39] offset:40
	global_load_dwordx2 v[10:11], v2, s[38:39]
	v_mov_b32_e32 v5, v8
	v_mov_b32_e32 v6, v9
	s_waitcnt vmcnt(1)
	v_and_b32_e32 v3, v3, v5
	v_and_b32_e32 v4, v4, v6
	s_waitcnt vmcnt(0)
	v_mad_u64_u32 v[7:8], null, v3, 24, v[10:11]
	v_mov_b32_e32 v3, v8
	v_mad_u64_u32 v[3:4], null, v4, 24, v[3:4]
	v_mov_b32_e32 v8, v3
	global_load_dwordx2 v[3:4], v[7:8], off glc dlc
	s_waitcnt vmcnt(0)
	global_atomic_cmpswap_x2 v[8:9], v2, v[3:6], s[38:39] offset:24 glc
	s_waitcnt vmcnt(0)
	buffer_gl1_inv
	buffer_gl0_inv
	v_cmp_eq_u64_e32 vcc_lo, v[8:9], v[5:6]
	s_or_b32 s7, vcc_lo, s7
	s_andn2_b32 exec_lo, exec_lo, s7
	s_cbranch_execnz .LBB3_1638
; %bb.1639:
	s_or_b32 exec_lo, exec_lo, s7
.LBB3_1640:
	s_or_b32 exec_lo, exec_lo, s6
.LBB3_1641:
	s_or_b32 exec_lo, exec_lo, s5
	s_waitcnt vmcnt(0)
	v_mov_b32_e32 v2, 0
	v_readfirstlane_b32 s6, v8
	v_readfirstlane_b32 s7, v9
	s_mov_b32 s5, exec_lo
	s_clause 0x1
	global_load_dwordx2 v[10:11], v2, s[38:39] offset:40
	global_load_dwordx4 v[4:7], v2, s[38:39]
	s_waitcnt vmcnt(1)
	v_readfirstlane_b32 s10, v10
	v_readfirstlane_b32 s11, v11
	s_and_b64 s[10:11], s[6:7], s[10:11]
	s_mul_i32 s15, s11, 24
	s_mul_hi_u32 s16, s10, 24
	s_mul_i32 s17, s10, 24
	s_add_i32 s16, s16, s15
	s_waitcnt vmcnt(0)
	v_add_co_u32 v8, vcc_lo, v4, s17
	v_add_co_ci_u32_e32 v9, vcc_lo, s16, v5, vcc_lo
	s_and_saveexec_b32 s15, s4
	s_cbranch_execz .LBB3_1643
; %bb.1642:
	v_mov_b32_e32 v10, s5
	v_mov_b32_e32 v11, v2
	;; [unrolled: 1-line block ×4, first 2 shown]
	global_store_dwordx4 v[8:9], v[10:13], off offset:8
.LBB3_1643:
	s_or_b32 exec_lo, exec_lo, s15
	s_lshl_b64 s[10:11], s[10:11], 12
	s_mov_b32 s16, 0
	v_add_co_u32 v6, vcc_lo, v6, s10
	v_add_co_ci_u32_e32 v7, vcc_lo, s11, v7, vcc_lo
	s_mov_b32 s17, s16
	v_readfirstlane_b32 s10, v6
	v_add_co_u32 v6, vcc_lo, v6, v50
	s_mov_b32 s18, s16
	s_mov_b32 s19, s16
	v_and_or_b32 v0, 0xffffff1f, v0, 32
	v_mov_b32_e32 v3, v2
	v_readfirstlane_b32 s11, v7
	v_mov_b32_e32 v10, s16
	v_add_co_ci_u32_e32 v7, vcc_lo, 0, v7, vcc_lo
	v_mov_b32_e32 v11, s17
	v_mov_b32_e32 v12, s18
	;; [unrolled: 1-line block ×3, first 2 shown]
	global_store_dwordx4 v50, v[0:3], s[10:11]
	global_store_dwordx4 v50, v[10:13], s[10:11] offset:16
	global_store_dwordx4 v50, v[10:13], s[10:11] offset:32
	;; [unrolled: 1-line block ×3, first 2 shown]
	s_and_saveexec_b32 s5, s4
	s_cbranch_execz .LBB3_1651
; %bb.1644:
	v_mov_b32_e32 v10, 0
	v_mov_b32_e32 v11, s6
	;; [unrolled: 1-line block ×3, first 2 shown]
	s_clause 0x1
	global_load_dwordx2 v[13:14], v10, s[38:39] offset:32 glc dlc
	global_load_dwordx2 v[0:1], v10, s[38:39] offset:40
	s_waitcnt vmcnt(0)
	v_readfirstlane_b32 s10, v0
	v_readfirstlane_b32 s11, v1
	s_and_b64 s[10:11], s[10:11], s[6:7]
	s_mul_i32 s11, s11, 24
	s_mul_hi_u32 s15, s10, 24
	s_mul_i32 s10, s10, 24
	s_add_i32 s15, s15, s11
	v_add_co_u32 v4, vcc_lo, v4, s10
	v_add_co_ci_u32_e32 v5, vcc_lo, s15, v5, vcc_lo
	s_mov_b32 s10, exec_lo
	global_store_dwordx2 v[4:5], v[13:14], off
	s_waitcnt_vscnt null, 0x0
	global_atomic_cmpswap_x2 v[2:3], v10, v[11:14], s[38:39] offset:32 glc
	s_waitcnt vmcnt(0)
	v_cmpx_ne_u64_e64 v[2:3], v[13:14]
	s_cbranch_execz .LBB3_1647
; %bb.1645:
	s_mov_b32 s11, 0
.LBB3_1646:                             ; =>This Inner Loop Header: Depth=1
	v_mov_b32_e32 v0, s6
	v_mov_b32_e32 v1, s7
	s_sleep 1
	global_store_dwordx2 v[4:5], v[2:3], off
	s_waitcnt_vscnt null, 0x0
	global_atomic_cmpswap_x2 v[0:1], v10, v[0:3], s[38:39] offset:32 glc
	s_waitcnt vmcnt(0)
	v_cmp_eq_u64_e32 vcc_lo, v[0:1], v[2:3]
	v_mov_b32_e32 v3, v1
	v_mov_b32_e32 v2, v0
	s_or_b32 s11, vcc_lo, s11
	s_andn2_b32 exec_lo, exec_lo, s11
	s_cbranch_execnz .LBB3_1646
.LBB3_1647:
	s_or_b32 exec_lo, exec_lo, s10
	v_mov_b32_e32 v3, 0
	s_mov_b32 s11, exec_lo
	s_mov_b32 s10, exec_lo
	v_mbcnt_lo_u32_b32 v2, s11, 0
	global_load_dwordx2 v[0:1], v3, s[38:39] offset:16
	v_cmpx_eq_u32_e32 0, v2
	s_cbranch_execz .LBB3_1649
; %bb.1648:
	s_bcnt1_i32_b32 s11, s11
	v_mov_b32_e32 v2, s11
	s_waitcnt vmcnt(0)
	global_atomic_add_x2 v[0:1], v[2:3], off offset:8
.LBB3_1649:
	s_or_b32 exec_lo, exec_lo, s10
	s_waitcnt vmcnt(0)
	global_load_dwordx2 v[2:3], v[0:1], off offset:16
	s_waitcnt vmcnt(0)
	v_cmp_eq_u64_e32 vcc_lo, 0, v[2:3]
	s_cbranch_vccnz .LBB3_1651
; %bb.1650:
	global_load_dword v0, v[0:1], off offset:24
	v_mov_b32_e32 v1, 0
	s_waitcnt vmcnt(0)
	v_and_b32_e32 v4, 0x7fffff, v0
	s_waitcnt_vscnt null, 0x0
	global_store_dwordx2 v[2:3], v[0:1], off
	v_readfirstlane_b32 m0, v4
	s_sendmsg sendmsg(MSG_INTERRUPT)
.LBB3_1651:
	s_or_b32 exec_lo, exec_lo, s5
	s_branch .LBB3_1655
	.p2align	6
.LBB3_1652:                             ;   in Loop: Header=BB3_1655 Depth=1
	s_or_b32 exec_lo, exec_lo, s5
	v_readfirstlane_b32 s5, v0
	s_cmp_eq_u32 s5, 0
	s_cbranch_scc1 .LBB3_1654
; %bb.1653:                             ;   in Loop: Header=BB3_1655 Depth=1
	s_sleep 1
	s_cbranch_execnz .LBB3_1655
	s_branch .LBB3_1657
	.p2align	6
.LBB3_1654:
	s_branch .LBB3_1657
.LBB3_1655:                             ; =>This Inner Loop Header: Depth=1
	v_mov_b32_e32 v0, 1
	s_and_saveexec_b32 s5, s4
	s_cbranch_execz .LBB3_1652
; %bb.1656:                             ;   in Loop: Header=BB3_1655 Depth=1
	global_load_dword v0, v[8:9], off offset:20 glc dlc
	s_waitcnt vmcnt(0)
	buffer_gl1_inv
	buffer_gl0_inv
	v_and_b32_e32 v0, 1, v0
	s_branch .LBB3_1652
.LBB3_1657:
	global_load_dwordx2 v[2:3], v[6:7], off
	s_and_saveexec_b32 s5, s4
	s_cbranch_execz .LBB3_1661
; %bb.1658:
	v_mov_b32_e32 v8, 0
	s_clause 0x2
	global_load_dwordx2 v[0:1], v8, s[38:39] offset:40
	global_load_dwordx2 v[9:10], v8, s[38:39] offset:24 glc dlc
	global_load_dwordx2 v[6:7], v8, s[38:39]
	s_waitcnt vmcnt(2)
	v_add_co_u32 v11, vcc_lo, v0, 1
	v_add_co_ci_u32_e32 v12, vcc_lo, 0, v1, vcc_lo
	v_add_co_u32 v4, vcc_lo, v11, s6
	v_add_co_ci_u32_e32 v5, vcc_lo, s7, v12, vcc_lo
	v_cmp_eq_u64_e32 vcc_lo, 0, v[4:5]
	v_cndmask_b32_e32 v5, v5, v12, vcc_lo
	v_cndmask_b32_e32 v4, v4, v11, vcc_lo
	v_and_b32_e32 v1, v5, v1
	v_and_b32_e32 v0, v4, v0
	v_mul_lo_u32 v1, v1, 24
	v_mul_hi_u32 v11, v0, 24
	v_mul_lo_u32 v0, v0, 24
	v_add_nc_u32_e32 v1, v11, v1
	s_waitcnt vmcnt(0)
	v_add_co_u32 v0, vcc_lo, v6, v0
	v_mov_b32_e32 v6, v9
	v_add_co_ci_u32_e32 v1, vcc_lo, v7, v1, vcc_lo
	v_mov_b32_e32 v7, v10
	global_store_dwordx2 v[0:1], v[9:10], off
	s_waitcnt_vscnt null, 0x0
	global_atomic_cmpswap_x2 v[6:7], v8, v[4:7], s[38:39] offset:24 glc
	s_waitcnt vmcnt(0)
	v_cmp_ne_u64_e32 vcc_lo, v[6:7], v[9:10]
	s_and_b32 exec_lo, exec_lo, vcc_lo
	s_cbranch_execz .LBB3_1661
; %bb.1659:
	s_mov_b32 s4, 0
.LBB3_1660:                             ; =>This Inner Loop Header: Depth=1
	s_sleep 1
	global_store_dwordx2 v[0:1], v[6:7], off
	s_waitcnt_vscnt null, 0x0
	global_atomic_cmpswap_x2 v[9:10], v8, v[4:7], s[38:39] offset:24 glc
	s_waitcnt vmcnt(0)
	v_cmp_eq_u64_e32 vcc_lo, v[9:10], v[6:7]
	v_mov_b32_e32 v6, v9
	v_mov_b32_e32 v7, v10
	s_or_b32 s4, vcc_lo, s4
	s_andn2_b32 exec_lo, exec_lo, s4
	s_cbranch_execnz .LBB3_1660
.LBB3_1661:
	s_or_b32 exec_lo, exec_lo, s5
.LBB3_1662:
	v_readfirstlane_b32 s4, v51
	s_waitcnt vmcnt(0)
	v_mov_b32_e32 v0, 0
	v_mov_b32_e32 v1, 0
	v_cmp_eq_u32_e64 s4, s4, v51
	s_and_saveexec_b32 s5, s4
	s_cbranch_execz .LBB3_1668
; %bb.1663:
	v_mov_b32_e32 v4, 0
	s_mov_b32 s6, exec_lo
	global_load_dwordx2 v[7:8], v4, s[38:39] offset:24 glc dlc
	s_waitcnt vmcnt(0)
	buffer_gl1_inv
	buffer_gl0_inv
	s_clause 0x1
	global_load_dwordx2 v[0:1], v4, s[38:39] offset:40
	global_load_dwordx2 v[5:6], v4, s[38:39]
	s_waitcnt vmcnt(1)
	v_and_b32_e32 v1, v1, v8
	v_and_b32_e32 v0, v0, v7
	v_mul_lo_u32 v1, v1, 24
	v_mul_hi_u32 v9, v0, 24
	v_mul_lo_u32 v0, v0, 24
	v_add_nc_u32_e32 v1, v9, v1
	s_waitcnt vmcnt(0)
	v_add_co_u32 v0, vcc_lo, v5, v0
	v_add_co_ci_u32_e32 v1, vcc_lo, v6, v1, vcc_lo
	global_load_dwordx2 v[5:6], v[0:1], off glc dlc
	s_waitcnt vmcnt(0)
	global_atomic_cmpswap_x2 v[0:1], v4, v[5:8], s[38:39] offset:24 glc
	s_waitcnt vmcnt(0)
	buffer_gl1_inv
	buffer_gl0_inv
	v_cmpx_ne_u64_e64 v[0:1], v[7:8]
	s_cbranch_execz .LBB3_1667
; %bb.1664:
	s_mov_b32 s7, 0
	.p2align	6
.LBB3_1665:                             ; =>This Inner Loop Header: Depth=1
	s_sleep 1
	s_clause 0x1
	global_load_dwordx2 v[5:6], v4, s[38:39] offset:40
	global_load_dwordx2 v[9:10], v4, s[38:39]
	v_mov_b32_e32 v8, v1
	v_mov_b32_e32 v7, v0
	s_waitcnt vmcnt(1)
	v_and_b32_e32 v0, v5, v7
	v_and_b32_e32 v5, v6, v8
	s_waitcnt vmcnt(0)
	v_mad_u64_u32 v[0:1], null, v0, 24, v[9:10]
	v_mad_u64_u32 v[5:6], null, v5, 24, v[1:2]
	v_mov_b32_e32 v1, v5
	global_load_dwordx2 v[5:6], v[0:1], off glc dlc
	s_waitcnt vmcnt(0)
	global_atomic_cmpswap_x2 v[0:1], v4, v[5:8], s[38:39] offset:24 glc
	s_waitcnt vmcnt(0)
	buffer_gl1_inv
	buffer_gl0_inv
	v_cmp_eq_u64_e32 vcc_lo, v[0:1], v[7:8]
	s_or_b32 s7, vcc_lo, s7
	s_andn2_b32 exec_lo, exec_lo, s7
	s_cbranch_execnz .LBB3_1665
; %bb.1666:
	s_or_b32 exec_lo, exec_lo, s7
.LBB3_1667:
	s_or_b32 exec_lo, exec_lo, s6
.LBB3_1668:
	s_or_b32 exec_lo, exec_lo, s5
	v_mov_b32_e32 v5, 0
	v_readfirstlane_b32 s6, v0
	v_readfirstlane_b32 s7, v1
	s_mov_b32 s5, exec_lo
	s_clause 0x1
	global_load_dwordx2 v[10:11], v5, s[38:39] offset:40
	global_load_dwordx4 v[6:9], v5, s[38:39]
	s_waitcnt vmcnt(1)
	v_readfirstlane_b32 s10, v10
	v_readfirstlane_b32 s11, v11
	s_and_b64 s[10:11], s[6:7], s[10:11]
	s_mul_i32 s15, s11, 24
	s_mul_hi_u32 s16, s10, 24
	s_mul_i32 s17, s10, 24
	s_add_i32 s16, s16, s15
	s_waitcnt vmcnt(0)
	v_add_co_u32 v10, vcc_lo, v6, s17
	v_add_co_ci_u32_e32 v11, vcc_lo, s16, v7, vcc_lo
	s_and_saveexec_b32 s15, s4
	s_cbranch_execz .LBB3_1670
; %bb.1669:
	v_mov_b32_e32 v4, s5
	v_mov_b32_e32 v13, v5
	;; [unrolled: 1-line block ×5, first 2 shown]
	global_store_dwordx4 v[10:11], v[12:15], off offset:8
.LBB3_1670:
	s_or_b32 exec_lo, exec_lo, s15
	s_lshl_b64 s[10:11], s[10:11], 12
	s_mov_b32 s16, 0
	v_add_co_u32 v0, vcc_lo, v8, s10
	v_add_co_ci_u32_e32 v1, vcc_lo, s11, v9, vcc_lo
	s_mov_b32 s17, s16
	s_mov_b32 s18, s16
	;; [unrolled: 1-line block ×3, first 2 shown]
	v_and_or_b32 v2, 0xffffff1d, v2, 34
	v_mov_b32_e32 v4, 10
	v_readfirstlane_b32 s10, v0
	v_readfirstlane_b32 s11, v1
	v_mov_b32_e32 v12, s16
	v_mov_b32_e32 v13, s17
	;; [unrolled: 1-line block ×4, first 2 shown]
	global_store_dwordx4 v50, v[2:5], s[10:11]
	global_store_dwordx4 v50, v[12:15], s[10:11] offset:16
	global_store_dwordx4 v50, v[12:15], s[10:11] offset:32
	;; [unrolled: 1-line block ×3, first 2 shown]
	s_and_saveexec_b32 s5, s4
	s_cbranch_execz .LBB3_1678
; %bb.1671:
	v_mov_b32_e32 v8, 0
	v_mov_b32_e32 v12, s6
	v_mov_b32_e32 v13, s7
	s_clause 0x1
	global_load_dwordx2 v[14:15], v8, s[38:39] offset:32 glc dlc
	global_load_dwordx2 v[0:1], v8, s[38:39] offset:40
	s_waitcnt vmcnt(0)
	v_readfirstlane_b32 s10, v0
	v_readfirstlane_b32 s11, v1
	s_and_b64 s[10:11], s[10:11], s[6:7]
	s_mul_i32 s11, s11, 24
	s_mul_hi_u32 s15, s10, 24
	s_mul_i32 s10, s10, 24
	s_add_i32 s15, s15, s11
	v_add_co_u32 v4, vcc_lo, v6, s10
	v_add_co_ci_u32_e32 v5, vcc_lo, s15, v7, vcc_lo
	s_mov_b32 s10, exec_lo
	global_store_dwordx2 v[4:5], v[14:15], off
	s_waitcnt_vscnt null, 0x0
	global_atomic_cmpswap_x2 v[2:3], v8, v[12:15], s[38:39] offset:32 glc
	s_waitcnt vmcnt(0)
	v_cmpx_ne_u64_e64 v[2:3], v[14:15]
	s_cbranch_execz .LBB3_1674
; %bb.1672:
	s_mov_b32 s11, 0
.LBB3_1673:                             ; =>This Inner Loop Header: Depth=1
	v_mov_b32_e32 v0, s6
	v_mov_b32_e32 v1, s7
	s_sleep 1
	global_store_dwordx2 v[4:5], v[2:3], off
	s_waitcnt_vscnt null, 0x0
	global_atomic_cmpswap_x2 v[0:1], v8, v[0:3], s[38:39] offset:32 glc
	s_waitcnt vmcnt(0)
	v_cmp_eq_u64_e32 vcc_lo, v[0:1], v[2:3]
	v_mov_b32_e32 v3, v1
	v_mov_b32_e32 v2, v0
	s_or_b32 s11, vcc_lo, s11
	s_andn2_b32 exec_lo, exec_lo, s11
	s_cbranch_execnz .LBB3_1673
.LBB3_1674:
	s_or_b32 exec_lo, exec_lo, s10
	v_mov_b32_e32 v3, 0
	s_mov_b32 s11, exec_lo
	s_mov_b32 s10, exec_lo
	v_mbcnt_lo_u32_b32 v2, s11, 0
	global_load_dwordx2 v[0:1], v3, s[38:39] offset:16
	v_cmpx_eq_u32_e32 0, v2
	s_cbranch_execz .LBB3_1676
; %bb.1675:
	s_bcnt1_i32_b32 s11, s11
	v_mov_b32_e32 v2, s11
	s_waitcnt vmcnt(0)
	global_atomic_add_x2 v[0:1], v[2:3], off offset:8
.LBB3_1676:
	s_or_b32 exec_lo, exec_lo, s10
	s_waitcnt vmcnt(0)
	global_load_dwordx2 v[2:3], v[0:1], off offset:16
	s_waitcnt vmcnt(0)
	v_cmp_eq_u64_e32 vcc_lo, 0, v[2:3]
	s_cbranch_vccnz .LBB3_1678
; %bb.1677:
	global_load_dword v0, v[0:1], off offset:24
	v_mov_b32_e32 v1, 0
	s_waitcnt vmcnt(0)
	v_and_b32_e32 v4, 0x7fffff, v0
	s_waitcnt_vscnt null, 0x0
	global_store_dwordx2 v[2:3], v[0:1], off
	v_readfirstlane_b32 m0, v4
	s_sendmsg sendmsg(MSG_INTERRUPT)
.LBB3_1678:
	s_or_b32 exec_lo, exec_lo, s5
	s_branch .LBB3_1682
	.p2align	6
.LBB3_1679:                             ;   in Loop: Header=BB3_1682 Depth=1
	s_or_b32 exec_lo, exec_lo, s5
	v_readfirstlane_b32 s5, v0
	s_cmp_eq_u32 s5, 0
	s_cbranch_scc1 .LBB3_1681
; %bb.1680:                             ;   in Loop: Header=BB3_1682 Depth=1
	s_sleep 1
	s_cbranch_execnz .LBB3_1682
	s_branch .LBB3_1684
	.p2align	6
.LBB3_1681:
	s_branch .LBB3_1684
.LBB3_1682:                             ; =>This Inner Loop Header: Depth=1
	v_mov_b32_e32 v0, 1
	s_and_saveexec_b32 s5, s4
	s_cbranch_execz .LBB3_1679
; %bb.1683:                             ;   in Loop: Header=BB3_1682 Depth=1
	global_load_dword v0, v[10:11], off offset:20 glc dlc
	s_waitcnt vmcnt(0)
	buffer_gl1_inv
	buffer_gl0_inv
	v_and_b32_e32 v0, 1, v0
	s_branch .LBB3_1679
.LBB3_1684:
	s_and_saveexec_b32 s5, s4
	s_cbranch_execz .LBB3_1688
; %bb.1685:
	v_mov_b32_e32 v6, 0
	s_clause 0x2
	global_load_dwordx2 v[2:3], v6, s[38:39] offset:40
	global_load_dwordx2 v[7:8], v6, s[38:39] offset:24 glc dlc
	global_load_dwordx2 v[4:5], v6, s[38:39]
	s_waitcnt vmcnt(2)
	v_add_co_u32 v9, vcc_lo, v2, 1
	v_add_co_ci_u32_e32 v10, vcc_lo, 0, v3, vcc_lo
	v_add_co_u32 v0, vcc_lo, v9, s6
	v_add_co_ci_u32_e32 v1, vcc_lo, s7, v10, vcc_lo
	v_cmp_eq_u64_e32 vcc_lo, 0, v[0:1]
	v_cndmask_b32_e32 v1, v1, v10, vcc_lo
	v_cndmask_b32_e32 v0, v0, v9, vcc_lo
	v_and_b32_e32 v3, v1, v3
	v_and_b32_e32 v2, v0, v2
	v_mul_lo_u32 v3, v3, 24
	v_mul_hi_u32 v9, v2, 24
	v_mul_lo_u32 v2, v2, 24
	v_add_nc_u32_e32 v3, v9, v3
	s_waitcnt vmcnt(0)
	v_add_co_u32 v4, vcc_lo, v4, v2
	v_mov_b32_e32 v2, v7
	v_add_co_ci_u32_e32 v5, vcc_lo, v5, v3, vcc_lo
	v_mov_b32_e32 v3, v8
	global_store_dwordx2 v[4:5], v[7:8], off
	s_waitcnt_vscnt null, 0x0
	global_atomic_cmpswap_x2 v[2:3], v6, v[0:3], s[38:39] offset:24 glc
	s_waitcnt vmcnt(0)
	v_cmp_ne_u64_e32 vcc_lo, v[2:3], v[7:8]
	s_and_b32 exec_lo, exec_lo, vcc_lo
	s_cbranch_execz .LBB3_1688
; %bb.1686:
	s_mov_b32 s4, 0
.LBB3_1687:                             ; =>This Inner Loop Header: Depth=1
	s_sleep 1
	global_store_dwordx2 v[4:5], v[2:3], off
	s_waitcnt_vscnt null, 0x0
	global_atomic_cmpswap_x2 v[7:8], v6, v[0:3], s[38:39] offset:24 glc
	s_waitcnt vmcnt(0)
	v_cmp_eq_u64_e32 vcc_lo, v[7:8], v[2:3]
	v_mov_b32_e32 v2, v7
	v_mov_b32_e32 v3, v8
	s_or_b32 s4, vcc_lo, s4
	s_andn2_b32 exec_lo, exec_lo, s4
	s_cbranch_execnz .LBB3_1687
.LBB3_1688:
	s_or_b32 exec_lo, exec_lo, s5
	flat_load_dwordx2 v[0:1], v[48:49]
	s_waitcnt vmcnt(0) lgkmcnt(0)
	flat_load_dword v2, v[0:1]
	s_waitcnt vmcnt(0) lgkmcnt(0)
	v_add_nc_u32_e32 v2, 1, v2
	flat_store_dword v[0:1], v2
.LBB3_1689:
	s_or_b32 exec_lo, exec_lo, s41
	s_getpc_b64 s[4:5]
	s_add_u32 s4, s4, _ZN8migraphx4test4failEv@rel32@lo+4
	s_addc_u32 s5, s5, _ZN8migraphx4test4failEv@rel32@hi+12
	s_swappc_b64 s[30:31], s[4:5]
	; divergent unreachable
.LBB3_1690:
	s_or_b32 exec_lo, exec_lo, s40
	v_readlane_b32 s30, v41, 0
	v_readlane_b32 s31, v41, 1
	;; [unrolled: 1-line block ×3, first 2 shown]
	s_or_saveexec_b32 s5, -1
	buffer_load_dword v41, off, s[0:3], s33 ; 4-byte Folded Reload
	s_mov_b32 exec_lo, s5
	s_addk_i32 s32, 0xfe00
	s_mov_b32 s33, s4
	s_waitcnt vmcnt(0)
	s_setpc_b64 s[30:31]
.Lfunc_end3:
	.size	_ZN8migraphx4test12test_manager6failedINS0_10expressionINS0_14lhs_expressionIRiNS0_3nopEEEiNS0_5equalEEEPFvvEEEvRKT_PKcSG_SG_iT0_, .Lfunc_end3-_ZN8migraphx4test12test_manager6failedINS0_10expressionINS0_14lhs_expressionIRiNS0_3nopEEEiNS0_5equalEEEPFvvEEEvRKT_PKcSG_SG_iT0_
                                        ; -- End function
	.section	.AMDGPU.csdata,"",@progbits
; Function info:
; codeLenInByte = 61420
; NumSgprs: 50
; NumVgprs: 52
; ScratchSize: 32
; MemoryBound: 0
	.text
	.p2align	2                               ; -- Begin function _ZN8migraphx4testlsIKNS_13basic_printerIZNS_4coutEvEUlT_E_EEEERS3_S7_RKNS0_14lhs_expressionIbNS0_3nopEEE
	.type	_ZN8migraphx4testlsIKNS_13basic_printerIZNS_4coutEvEUlT_E_EEEERS3_S7_RKNS0_14lhs_expressionIbNS0_3nopEEE,@function
_ZN8migraphx4testlsIKNS_13basic_printerIZNS_4coutEvEUlT_E_EEEERS3_S7_RKNS0_14lhs_expressionIbNS0_3nopEEE: ; @_ZN8migraphx4testlsIKNS_13basic_printerIZNS_4coutEvEUlT_E_EEEERS3_S7_RKNS0_14lhs_expressionIbNS0_3nopEEE
; %bb.0:
	s_waitcnt vmcnt(0) expcnt(0) lgkmcnt(0)
	s_load_dwordx2 s[6:7], s[8:9], 0x50
	v_and_b32_e32 v0, 1, v0
	v_mbcnt_lo_u32_b32 v28, -1, 0
	v_cmp_eq_u32_e32 vcc_lo, 1, v0
	s_xor_b32 s4, vcc_lo, -1
	s_and_saveexec_b32 s5, s4
	s_xor_b32 s18, exec_lo, s5
	s_cbranch_execz .LBB4_106
; %bb.1:
	v_readfirstlane_b32 s4, v28
	v_mov_b32_e32 v6, 0
	v_mov_b32_e32 v7, 0
	v_cmp_eq_u32_e64 s4, s4, v28
	s_and_saveexec_b32 s5, s4
	s_cbranch_execz .LBB4_7
; %bb.2:
	v_mov_b32_e32 v0, 0
	s_mov_b32 s8, exec_lo
	s_waitcnt lgkmcnt(0)
	global_load_dwordx2 v[3:4], v0, s[6:7] offset:24 glc dlc
	s_waitcnt vmcnt(0)
	buffer_gl1_inv
	buffer_gl0_inv
	s_clause 0x1
	global_load_dwordx2 v[1:2], v0, s[6:7] offset:40
	global_load_dwordx2 v[5:6], v0, s[6:7]
	s_waitcnt vmcnt(1)
	v_and_b32_e32 v2, v2, v4
	v_and_b32_e32 v1, v1, v3
	v_mul_lo_u32 v2, v2, 24
	v_mul_hi_u32 v7, v1, 24
	v_mul_lo_u32 v1, v1, 24
	v_add_nc_u32_e32 v2, v7, v2
	s_waitcnt vmcnt(0)
	v_add_co_u32 v1, vcc_lo, v5, v1
	v_add_co_ci_u32_e32 v2, vcc_lo, v6, v2, vcc_lo
	global_load_dwordx2 v[1:2], v[1:2], off glc dlc
	s_waitcnt vmcnt(0)
	global_atomic_cmpswap_x2 v[6:7], v0, v[1:4], s[6:7] offset:24 glc
	s_waitcnt vmcnt(0)
	buffer_gl1_inv
	buffer_gl0_inv
	v_cmpx_ne_u64_e64 v[6:7], v[3:4]
	s_cbranch_execz .LBB4_6
; %bb.3:
	s_mov_b32 s9, 0
	.p2align	6
.LBB4_4:                                ; =>This Inner Loop Header: Depth=1
	s_sleep 1
	s_clause 0x1
	global_load_dwordx2 v[1:2], v0, s[6:7] offset:40
	global_load_dwordx2 v[8:9], v0, s[6:7]
	v_mov_b32_e32 v3, v6
	v_mov_b32_e32 v4, v7
	s_waitcnt vmcnt(1)
	v_and_b32_e32 v1, v1, v3
	v_and_b32_e32 v2, v2, v4
	s_waitcnt vmcnt(0)
	v_mad_u64_u32 v[5:6], null, v1, 24, v[8:9]
	v_mov_b32_e32 v1, v6
	v_mad_u64_u32 v[1:2], null, v2, 24, v[1:2]
	v_mov_b32_e32 v6, v1
	global_load_dwordx2 v[1:2], v[5:6], off glc dlc
	s_waitcnt vmcnt(0)
	global_atomic_cmpswap_x2 v[6:7], v0, v[1:4], s[6:7] offset:24 glc
	s_waitcnt vmcnt(0)
	buffer_gl1_inv
	buffer_gl0_inv
	v_cmp_eq_u64_e32 vcc_lo, v[6:7], v[3:4]
	s_or_b32 s9, vcc_lo, s9
	s_andn2_b32 exec_lo, exec_lo, s9
	s_cbranch_execnz .LBB4_4
; %bb.5:
	s_or_b32 exec_lo, exec_lo, s9
.LBB4_6:
	s_or_b32 exec_lo, exec_lo, s8
.LBB4_7:
	s_or_b32 exec_lo, exec_lo, s5
	v_mov_b32_e32 v5, 0
	v_readfirstlane_b32 s8, v6
	v_readfirstlane_b32 s9, v7
	s_mov_b32 s5, exec_lo
	s_waitcnt lgkmcnt(0)
	s_clause 0x1
	global_load_dwordx2 v[8:9], v5, s[6:7] offset:40
	global_load_dwordx4 v[0:3], v5, s[6:7]
	s_waitcnt vmcnt(1)
	v_readfirstlane_b32 s10, v8
	v_readfirstlane_b32 s11, v9
	s_and_b64 s[10:11], s[8:9], s[10:11]
	s_mul_i32 s12, s11, 24
	s_mul_hi_u32 s13, s10, 24
	s_mul_i32 s14, s10, 24
	s_add_i32 s13, s13, s12
	s_waitcnt vmcnt(0)
	v_add_co_u32 v8, vcc_lo, v0, s14
	v_add_co_ci_u32_e32 v9, vcc_lo, s13, v1, vcc_lo
	s_and_saveexec_b32 s12, s4
	s_cbranch_execz .LBB4_9
; %bb.8:
	v_mov_b32_e32 v4, s5
	v_mov_b32_e32 v6, 2
	v_mov_b32_e32 v7, 1
	global_store_dwordx4 v[8:9], v[4:7], off offset:8
.LBB4_9:
	s_or_b32 exec_lo, exec_lo, s12
	s_lshl_b64 s[10:11], s[10:11], 12
	v_lshlrev_b32_e32 v29, 6, v28
	v_add_co_u32 v2, vcc_lo, v2, s10
	v_add_co_ci_u32_e32 v3, vcc_lo, s11, v3, vcc_lo
	s_mov_b32 s12, 0
	v_add_co_u32 v10, vcc_lo, v2, v29
	s_mov_b32 s13, s12
	s_mov_b32 s14, s12
	;; [unrolled: 1-line block ×3, first 2 shown]
	v_mov_b32_e32 v4, 33
	v_mov_b32_e32 v6, v5
	;; [unrolled: 1-line block ×3, first 2 shown]
	v_readfirstlane_b32 s10, v2
	v_readfirstlane_b32 s11, v3
	v_mov_b32_e32 v12, s12
	v_add_co_ci_u32_e32 v11, vcc_lo, 0, v3, vcc_lo
	v_mov_b32_e32 v13, s13
	v_mov_b32_e32 v14, s14
	;; [unrolled: 1-line block ×3, first 2 shown]
	global_store_dwordx4 v29, v[4:7], s[10:11]
	global_store_dwordx4 v29, v[12:15], s[10:11] offset:16
	global_store_dwordx4 v29, v[12:15], s[10:11] offset:32
	;; [unrolled: 1-line block ×3, first 2 shown]
	s_and_saveexec_b32 s5, s4
	s_cbranch_execz .LBB4_17
; %bb.10:
	v_mov_b32_e32 v6, 0
	v_mov_b32_e32 v12, s8
	;; [unrolled: 1-line block ×3, first 2 shown]
	s_mov_b32 s10, exec_lo
	s_clause 0x1
	global_load_dwordx2 v[14:15], v6, s[6:7] offset:32 glc dlc
	global_load_dwordx2 v[2:3], v6, s[6:7] offset:40
	s_waitcnt vmcnt(0)
	v_and_b32_e32 v3, s9, v3
	v_and_b32_e32 v2, s8, v2
	v_mul_lo_u32 v3, v3, 24
	v_mul_hi_u32 v4, v2, 24
	v_mul_lo_u32 v2, v2, 24
	v_add_nc_u32_e32 v3, v4, v3
	v_add_co_u32 v4, vcc_lo, v0, v2
	v_add_co_ci_u32_e32 v5, vcc_lo, v1, v3, vcc_lo
	global_store_dwordx2 v[4:5], v[14:15], off
	s_waitcnt_vscnt null, 0x0
	global_atomic_cmpswap_x2 v[2:3], v6, v[12:15], s[6:7] offset:32 glc
	s_waitcnt vmcnt(0)
	v_cmpx_ne_u64_e64 v[2:3], v[14:15]
	s_cbranch_execz .LBB4_13
; %bb.11:
	s_mov_b32 s11, 0
.LBB4_12:                               ; =>This Inner Loop Header: Depth=1
	v_mov_b32_e32 v0, s8
	v_mov_b32_e32 v1, s9
	s_sleep 1
	global_store_dwordx2 v[4:5], v[2:3], off
	s_waitcnt_vscnt null, 0x0
	global_atomic_cmpswap_x2 v[0:1], v6, v[0:3], s[6:7] offset:32 glc
	s_waitcnt vmcnt(0)
	v_cmp_eq_u64_e32 vcc_lo, v[0:1], v[2:3]
	v_mov_b32_e32 v3, v1
	v_mov_b32_e32 v2, v0
	s_or_b32 s11, vcc_lo, s11
	s_andn2_b32 exec_lo, exec_lo, s11
	s_cbranch_execnz .LBB4_12
.LBB4_13:
	s_or_b32 exec_lo, exec_lo, s10
	v_mov_b32_e32 v3, 0
	s_mov_b32 s11, exec_lo
	s_mov_b32 s10, exec_lo
	v_mbcnt_lo_u32_b32 v2, s11, 0
	global_load_dwordx2 v[0:1], v3, s[6:7] offset:16
	v_cmpx_eq_u32_e32 0, v2
	s_cbranch_execz .LBB4_15
; %bb.14:
	s_bcnt1_i32_b32 s11, s11
	v_mov_b32_e32 v2, s11
	s_waitcnt vmcnt(0)
	global_atomic_add_x2 v[0:1], v[2:3], off offset:8
.LBB4_15:
	s_or_b32 exec_lo, exec_lo, s10
	s_waitcnt vmcnt(0)
	global_load_dwordx2 v[2:3], v[0:1], off offset:16
	s_waitcnt vmcnt(0)
	v_cmp_eq_u64_e32 vcc_lo, 0, v[2:3]
	s_cbranch_vccnz .LBB4_17
; %bb.16:
	global_load_dword v0, v[0:1], off offset:24
	v_mov_b32_e32 v1, 0
	s_waitcnt vmcnt(0)
	v_and_b32_e32 v4, 0x7fffff, v0
	s_waitcnt_vscnt null, 0x0
	global_store_dwordx2 v[2:3], v[0:1], off
	v_readfirstlane_b32 m0, v4
	s_sendmsg sendmsg(MSG_INTERRUPT)
.LBB4_17:
	s_or_b32 exec_lo, exec_lo, s5
	s_branch .LBB4_21
	.p2align	6
.LBB4_18:                               ;   in Loop: Header=BB4_21 Depth=1
	s_or_b32 exec_lo, exec_lo, s5
	v_readfirstlane_b32 s5, v0
	s_cmp_eq_u32 s5, 0
	s_cbranch_scc1 .LBB4_20
; %bb.19:                               ;   in Loop: Header=BB4_21 Depth=1
	s_sleep 1
	s_cbranch_execnz .LBB4_21
	s_branch .LBB4_23
	.p2align	6
.LBB4_20:
	s_branch .LBB4_23
.LBB4_21:                               ; =>This Inner Loop Header: Depth=1
	v_mov_b32_e32 v0, 1
	s_and_saveexec_b32 s5, s4
	s_cbranch_execz .LBB4_18
; %bb.22:                               ;   in Loop: Header=BB4_21 Depth=1
	global_load_dword v0, v[8:9], off offset:20 glc dlc
	s_waitcnt vmcnt(0)
	buffer_gl1_inv
	buffer_gl0_inv
	v_and_b32_e32 v0, 1, v0
	s_branch .LBB4_18
.LBB4_23:
	global_load_dwordx2 v[0:1], v[10:11], off
	s_and_saveexec_b32 s5, s4
	s_cbranch_execz .LBB4_27
; %bb.24:
	v_mov_b32_e32 v8, 0
	s_clause 0x2
	global_load_dwordx2 v[4:5], v8, s[6:7] offset:40
	global_load_dwordx2 v[9:10], v8, s[6:7] offset:24 glc dlc
	global_load_dwordx2 v[6:7], v8, s[6:7]
	s_waitcnt vmcnt(2)
	v_add_co_u32 v11, vcc_lo, v4, 1
	v_add_co_ci_u32_e32 v12, vcc_lo, 0, v5, vcc_lo
	v_add_co_u32 v2, vcc_lo, v11, s8
	v_add_co_ci_u32_e32 v3, vcc_lo, s9, v12, vcc_lo
	v_cmp_eq_u64_e32 vcc_lo, 0, v[2:3]
	v_cndmask_b32_e32 v3, v3, v12, vcc_lo
	v_cndmask_b32_e32 v2, v2, v11, vcc_lo
	v_and_b32_e32 v5, v3, v5
	v_and_b32_e32 v4, v2, v4
	v_mul_lo_u32 v5, v5, 24
	v_mul_hi_u32 v11, v4, 24
	v_mul_lo_u32 v4, v4, 24
	v_add_nc_u32_e32 v5, v11, v5
	s_waitcnt vmcnt(0)
	v_add_co_u32 v6, vcc_lo, v6, v4
	v_mov_b32_e32 v4, v9
	v_add_co_ci_u32_e32 v7, vcc_lo, v7, v5, vcc_lo
	v_mov_b32_e32 v5, v10
	global_store_dwordx2 v[6:7], v[9:10], off
	s_waitcnt_vscnt null, 0x0
	global_atomic_cmpswap_x2 v[4:5], v8, v[2:5], s[6:7] offset:24 glc
	s_waitcnt vmcnt(0)
	v_cmp_ne_u64_e32 vcc_lo, v[4:5], v[9:10]
	s_and_b32 exec_lo, exec_lo, vcc_lo
	s_cbranch_execz .LBB4_27
; %bb.25:
	s_mov_b32 s4, 0
.LBB4_26:                               ; =>This Inner Loop Header: Depth=1
	s_sleep 1
	global_store_dwordx2 v[6:7], v[4:5], off
	s_waitcnt_vscnt null, 0x0
	global_atomic_cmpswap_x2 v[9:10], v8, v[2:5], s[6:7] offset:24 glc
	s_waitcnt vmcnt(0)
	v_cmp_eq_u64_e32 vcc_lo, v[9:10], v[4:5]
	v_mov_b32_e32 v4, v9
	v_mov_b32_e32 v5, v10
	s_or_b32 s4, vcc_lo, s4
	s_andn2_b32 exec_lo, exec_lo, s4
	s_cbranch_execnz .LBB4_26
.LBB4_27:
	s_or_b32 exec_lo, exec_lo, s5
	s_getpc_b64 s[8:9]
	s_add_u32 s8, s8, .str.27@rel32@lo+4
	s_addc_u32 s9, s9, .str.27@rel32@hi+12
	s_cmp_lg_u64 s[8:9], 0
	s_cbranch_scc0 .LBB4_212
; %bb.28:
	s_waitcnt vmcnt(0)
	v_and_b32_e32 v6, -3, v0
	v_mov_b32_e32 v7, v1
	v_mov_b32_e32 v3, 0
	;; [unrolled: 1-line block ×4, first 2 shown]
	s_mov_b64 s[10:11], 6
	s_branch .LBB4_30
.LBB4_29:                               ;   in Loop: Header=BB4_30 Depth=1
	s_or_b32 exec_lo, exec_lo, s5
	s_sub_u32 s10, s10, s12
	s_subb_u32 s11, s11, s13
	s_add_u32 s8, s8, s12
	s_addc_u32 s9, s9, s13
	s_cmp_lg_u64 s[10:11], 0
	s_cbranch_scc0 .LBB4_105
.LBB4_30:                               ; =>This Loop Header: Depth=1
                                        ;     Child Loop BB4_39 Depth 2
                                        ;     Child Loop BB4_35 Depth 2
	;; [unrolled: 1-line block ×11, first 2 shown]
	v_cmp_lt_u64_e64 s4, s[10:11], 56
	v_cmp_gt_u64_e64 s5, s[10:11], 7
                                        ; implicit-def: $sgpr19
	s_and_b32 s4, s4, exec_lo
	s_cselect_b32 s13, s11, 0
	s_cselect_b32 s12, s10, 56
	s_and_b32 vcc_lo, exec_lo, s5
	s_mov_b32 s4, -1
	s_cbranch_vccz .LBB4_37
; %bb.31:                               ;   in Loop: Header=BB4_30 Depth=1
	s_andn2_b32 vcc_lo, exec_lo, s4
	s_mov_b64 s[4:5], s[8:9]
	s_cbranch_vccz .LBB4_41
.LBB4_32:                               ;   in Loop: Header=BB4_30 Depth=1
	s_cmp_gt_u32 s19, 7
	s_cbranch_scc1 .LBB4_42
.LBB4_33:                               ;   in Loop: Header=BB4_30 Depth=1
	v_mov_b32_e32 v10, 0
	v_mov_b32_e32 v11, 0
	s_cmp_eq_u32 s19, 0
	s_cbranch_scc1 .LBB4_36
; %bb.34:                               ;   in Loop: Header=BB4_30 Depth=1
	s_mov_b64 s[14:15], 0
	s_mov_b64 s[16:17], 0
.LBB4_35:                               ;   Parent Loop BB4_30 Depth=1
                                        ; =>  This Inner Loop Header: Depth=2
	s_add_u32 s20, s4, s16
	s_addc_u32 s21, s5, s17
	s_add_u32 s16, s16, 1
	global_load_ubyte v2, v3, s[20:21]
	s_addc_u32 s17, s17, 0
	s_waitcnt vmcnt(0)
	v_and_b32_e32 v2, 0xffff, v2
	v_lshlrev_b64 v[12:13], s14, v[2:3]
	s_add_u32 s14, s14, 8
	s_addc_u32 s15, s15, 0
	s_cmp_lg_u32 s19, s16
	v_or_b32_e32 v10, v12, v10
	v_or_b32_e32 v11, v13, v11
	s_cbranch_scc1 .LBB4_35
.LBB4_36:                               ;   in Loop: Header=BB4_30 Depth=1
	s_mov_b32 s20, 0
	s_cbranch_execz .LBB4_43
	s_branch .LBB4_44
.LBB4_37:                               ;   in Loop: Header=BB4_30 Depth=1
	s_waitcnt vmcnt(0)
	v_mov_b32_e32 v8, 0
	v_mov_b32_e32 v9, 0
	s_cmp_eq_u64 s[10:11], 0
	s_mov_b64 s[4:5], 0
	s_cbranch_scc1 .LBB4_40
; %bb.38:                               ;   in Loop: Header=BB4_30 Depth=1
	v_mov_b32_e32 v8, 0
	v_mov_b32_e32 v9, 0
	s_lshl_b64 s[14:15], s[12:13], 3
	s_mov_b64 s[16:17], s[8:9]
.LBB4_39:                               ;   Parent Loop BB4_30 Depth=1
                                        ; =>  This Inner Loop Header: Depth=2
	global_load_ubyte v2, v3, s[16:17]
	s_waitcnt vmcnt(0)
	v_and_b32_e32 v2, 0xffff, v2
	v_lshlrev_b64 v[10:11], s4, v[2:3]
	s_add_u32 s4, s4, 8
	s_addc_u32 s5, s5, 0
	s_add_u32 s16, s16, 1
	s_addc_u32 s17, s17, 0
	s_cmp_lg_u32 s14, s4
	v_or_b32_e32 v8, v10, v8
	v_or_b32_e32 v9, v11, v9
	s_cbranch_scc1 .LBB4_39
.LBB4_40:                               ;   in Loop: Header=BB4_30 Depth=1
	s_mov_b32 s19, 0
	s_mov_b64 s[4:5], s[8:9]
	s_cbranch_execnz .LBB4_32
.LBB4_41:                               ;   in Loop: Header=BB4_30 Depth=1
	global_load_dwordx2 v[8:9], v3, s[8:9]
	s_add_i32 s19, s12, -8
	s_add_u32 s4, s8, 8
	s_addc_u32 s5, s9, 0
	s_cmp_gt_u32 s19, 7
	s_cbranch_scc0 .LBB4_33
.LBB4_42:                               ;   in Loop: Header=BB4_30 Depth=1
                                        ; implicit-def: $vgpr10_vgpr11
                                        ; implicit-def: $sgpr20
.LBB4_43:                               ;   in Loop: Header=BB4_30 Depth=1
	global_load_dwordx2 v[10:11], v3, s[4:5]
	s_add_i32 s20, s19, -8
	s_add_u32 s4, s4, 8
	s_addc_u32 s5, s5, 0
.LBB4_44:                               ;   in Loop: Header=BB4_30 Depth=1
	s_cmp_gt_u32 s20, 7
	s_cbranch_scc1 .LBB4_49
; %bb.45:                               ;   in Loop: Header=BB4_30 Depth=1
	v_mov_b32_e32 v12, 0
	v_mov_b32_e32 v13, 0
	s_cmp_eq_u32 s20, 0
	s_cbranch_scc1 .LBB4_48
; %bb.46:                               ;   in Loop: Header=BB4_30 Depth=1
	s_mov_b64 s[14:15], 0
	s_mov_b64 s[16:17], 0
.LBB4_47:                               ;   Parent Loop BB4_30 Depth=1
                                        ; =>  This Inner Loop Header: Depth=2
	s_add_u32 s22, s4, s16
	s_addc_u32 s23, s5, s17
	s_add_u32 s16, s16, 1
	global_load_ubyte v2, v3, s[22:23]
	s_addc_u32 s17, s17, 0
	s_waitcnt vmcnt(0)
	v_and_b32_e32 v2, 0xffff, v2
	v_lshlrev_b64 v[14:15], s14, v[2:3]
	s_add_u32 s14, s14, 8
	s_addc_u32 s15, s15, 0
	s_cmp_lg_u32 s20, s16
	v_or_b32_e32 v12, v14, v12
	v_or_b32_e32 v13, v15, v13
	s_cbranch_scc1 .LBB4_47
.LBB4_48:                               ;   in Loop: Header=BB4_30 Depth=1
	s_mov_b32 s19, 0
	s_cbranch_execz .LBB4_50
	s_branch .LBB4_51
.LBB4_49:                               ;   in Loop: Header=BB4_30 Depth=1
                                        ; implicit-def: $sgpr19
.LBB4_50:                               ;   in Loop: Header=BB4_30 Depth=1
	global_load_dwordx2 v[12:13], v3, s[4:5]
	s_add_i32 s19, s20, -8
	s_add_u32 s4, s4, 8
	s_addc_u32 s5, s5, 0
.LBB4_51:                               ;   in Loop: Header=BB4_30 Depth=1
	s_cmp_gt_u32 s19, 7
	s_cbranch_scc1 .LBB4_56
; %bb.52:                               ;   in Loop: Header=BB4_30 Depth=1
	v_mov_b32_e32 v14, 0
	v_mov_b32_e32 v15, 0
	s_cmp_eq_u32 s19, 0
	s_cbranch_scc1 .LBB4_55
; %bb.53:                               ;   in Loop: Header=BB4_30 Depth=1
	s_mov_b64 s[14:15], 0
	s_mov_b64 s[16:17], 0
.LBB4_54:                               ;   Parent Loop BB4_30 Depth=1
                                        ; =>  This Inner Loop Header: Depth=2
	s_add_u32 s20, s4, s16
	s_addc_u32 s21, s5, s17
	s_add_u32 s16, s16, 1
	global_load_ubyte v2, v3, s[20:21]
	s_addc_u32 s17, s17, 0
	s_waitcnt vmcnt(0)
	v_and_b32_e32 v2, 0xffff, v2
	v_lshlrev_b64 v[16:17], s14, v[2:3]
	s_add_u32 s14, s14, 8
	s_addc_u32 s15, s15, 0
	s_cmp_lg_u32 s19, s16
	v_or_b32_e32 v14, v16, v14
	v_or_b32_e32 v15, v17, v15
	s_cbranch_scc1 .LBB4_54
.LBB4_55:                               ;   in Loop: Header=BB4_30 Depth=1
	s_mov_b32 s20, 0
	s_cbranch_execz .LBB4_57
	s_branch .LBB4_58
.LBB4_56:                               ;   in Loop: Header=BB4_30 Depth=1
                                        ; implicit-def: $vgpr14_vgpr15
                                        ; implicit-def: $sgpr20
.LBB4_57:                               ;   in Loop: Header=BB4_30 Depth=1
	global_load_dwordx2 v[14:15], v3, s[4:5]
	s_add_i32 s20, s19, -8
	s_add_u32 s4, s4, 8
	s_addc_u32 s5, s5, 0
.LBB4_58:                               ;   in Loop: Header=BB4_30 Depth=1
	s_cmp_gt_u32 s20, 7
	s_cbranch_scc1 .LBB4_63
; %bb.59:                               ;   in Loop: Header=BB4_30 Depth=1
	v_mov_b32_e32 v16, 0
	v_mov_b32_e32 v17, 0
	s_cmp_eq_u32 s20, 0
	s_cbranch_scc1 .LBB4_62
; %bb.60:                               ;   in Loop: Header=BB4_30 Depth=1
	s_mov_b64 s[14:15], 0
	s_mov_b64 s[16:17], 0
.LBB4_61:                               ;   Parent Loop BB4_30 Depth=1
                                        ; =>  This Inner Loop Header: Depth=2
	s_add_u32 s22, s4, s16
	s_addc_u32 s23, s5, s17
	s_add_u32 s16, s16, 1
	global_load_ubyte v2, v3, s[22:23]
	s_addc_u32 s17, s17, 0
	s_waitcnt vmcnt(0)
	v_and_b32_e32 v2, 0xffff, v2
	v_lshlrev_b64 v[18:19], s14, v[2:3]
	s_add_u32 s14, s14, 8
	s_addc_u32 s15, s15, 0
	s_cmp_lg_u32 s20, s16
	v_or_b32_e32 v16, v18, v16
	v_or_b32_e32 v17, v19, v17
	s_cbranch_scc1 .LBB4_61
.LBB4_62:                               ;   in Loop: Header=BB4_30 Depth=1
	s_mov_b32 s19, 0
	s_cbranch_execz .LBB4_64
	s_branch .LBB4_65
.LBB4_63:                               ;   in Loop: Header=BB4_30 Depth=1
                                        ; implicit-def: $sgpr19
.LBB4_64:                               ;   in Loop: Header=BB4_30 Depth=1
	global_load_dwordx2 v[16:17], v3, s[4:5]
	s_add_i32 s19, s20, -8
	s_add_u32 s4, s4, 8
	s_addc_u32 s5, s5, 0
.LBB4_65:                               ;   in Loop: Header=BB4_30 Depth=1
	s_cmp_gt_u32 s19, 7
	s_cbranch_scc1 .LBB4_70
; %bb.66:                               ;   in Loop: Header=BB4_30 Depth=1
	v_mov_b32_e32 v18, 0
	v_mov_b32_e32 v19, 0
	s_cmp_eq_u32 s19, 0
	s_cbranch_scc1 .LBB4_69
; %bb.67:                               ;   in Loop: Header=BB4_30 Depth=1
	s_mov_b64 s[14:15], 0
	s_mov_b64 s[16:17], 0
.LBB4_68:                               ;   Parent Loop BB4_30 Depth=1
                                        ; =>  This Inner Loop Header: Depth=2
	s_add_u32 s20, s4, s16
	s_addc_u32 s21, s5, s17
	s_add_u32 s16, s16, 1
	global_load_ubyte v2, v3, s[20:21]
	s_addc_u32 s17, s17, 0
	s_waitcnt vmcnt(0)
	v_and_b32_e32 v2, 0xffff, v2
	v_lshlrev_b64 v[20:21], s14, v[2:3]
	s_add_u32 s14, s14, 8
	s_addc_u32 s15, s15, 0
	s_cmp_lg_u32 s19, s16
	v_or_b32_e32 v18, v20, v18
	v_or_b32_e32 v19, v21, v19
	s_cbranch_scc1 .LBB4_68
.LBB4_69:                               ;   in Loop: Header=BB4_30 Depth=1
	s_mov_b32 s20, 0
	s_cbranch_execz .LBB4_71
	s_branch .LBB4_72
.LBB4_70:                               ;   in Loop: Header=BB4_30 Depth=1
                                        ; implicit-def: $vgpr18_vgpr19
                                        ; implicit-def: $sgpr20
.LBB4_71:                               ;   in Loop: Header=BB4_30 Depth=1
	global_load_dwordx2 v[18:19], v3, s[4:5]
	s_add_i32 s20, s19, -8
	s_add_u32 s4, s4, 8
	s_addc_u32 s5, s5, 0
.LBB4_72:                               ;   in Loop: Header=BB4_30 Depth=1
	s_cmp_gt_u32 s20, 7
	s_cbranch_scc1 .LBB4_77
; %bb.73:                               ;   in Loop: Header=BB4_30 Depth=1
	v_mov_b32_e32 v20, 0
	v_mov_b32_e32 v21, 0
	s_cmp_eq_u32 s20, 0
	s_cbranch_scc1 .LBB4_76
; %bb.74:                               ;   in Loop: Header=BB4_30 Depth=1
	s_mov_b64 s[14:15], 0
	s_mov_b64 s[16:17], s[4:5]
.LBB4_75:                               ;   Parent Loop BB4_30 Depth=1
                                        ; =>  This Inner Loop Header: Depth=2
	global_load_ubyte v2, v3, s[16:17]
	s_add_i32 s20, s20, -1
	s_waitcnt vmcnt(0)
	v_and_b32_e32 v2, 0xffff, v2
	v_lshlrev_b64 v[22:23], s14, v[2:3]
	s_add_u32 s14, s14, 8
	s_addc_u32 s15, s15, 0
	s_add_u32 s16, s16, 1
	s_addc_u32 s17, s17, 0
	s_cmp_lg_u32 s20, 0
	v_or_b32_e32 v20, v22, v20
	v_or_b32_e32 v21, v23, v21
	s_cbranch_scc1 .LBB4_75
.LBB4_76:                               ;   in Loop: Header=BB4_30 Depth=1
	s_cbranch_execz .LBB4_78
	s_branch .LBB4_79
.LBB4_77:                               ;   in Loop: Header=BB4_30 Depth=1
.LBB4_78:                               ;   in Loop: Header=BB4_30 Depth=1
	global_load_dwordx2 v[20:21], v3, s[4:5]
.LBB4_79:                               ;   in Loop: Header=BB4_30 Depth=1
	v_readfirstlane_b32 s4, v28
	v_mov_b32_e32 v26, 0
	v_mov_b32_e32 v27, 0
	v_cmp_eq_u32_e64 s4, s4, v28
	s_and_saveexec_b32 s5, s4
	s_cbranch_execz .LBB4_85
; %bb.80:                               ;   in Loop: Header=BB4_30 Depth=1
	global_load_dwordx2 v[24:25], v3, s[6:7] offset:24 glc dlc
	s_waitcnt vmcnt(0)
	buffer_gl1_inv
	buffer_gl0_inv
	s_clause 0x1
	global_load_dwordx2 v[22:23], v3, s[6:7] offset:40
	global_load_dwordx2 v[26:27], v3, s[6:7]
	s_mov_b32 s14, exec_lo
	s_waitcnt vmcnt(1)
	v_and_b32_e32 v2, v23, v25
	v_and_b32_e32 v22, v22, v24
	v_mul_lo_u32 v2, v2, 24
	v_mul_hi_u32 v23, v22, 24
	v_mul_lo_u32 v22, v22, 24
	v_add_nc_u32_e32 v2, v23, v2
	s_waitcnt vmcnt(0)
	v_add_co_u32 v22, vcc_lo, v26, v22
	v_add_co_ci_u32_e32 v23, vcc_lo, v27, v2, vcc_lo
	global_load_dwordx2 v[22:23], v[22:23], off glc dlc
	s_waitcnt vmcnt(0)
	global_atomic_cmpswap_x2 v[26:27], v3, v[22:25], s[6:7] offset:24 glc
	s_waitcnt vmcnt(0)
	buffer_gl1_inv
	buffer_gl0_inv
	v_cmpx_ne_u64_e64 v[26:27], v[24:25]
	s_cbranch_execz .LBB4_84
; %bb.81:                               ;   in Loop: Header=BB4_30 Depth=1
	s_mov_b32 s15, 0
	.p2align	6
.LBB4_82:                               ;   Parent Loop BB4_30 Depth=1
                                        ; =>  This Inner Loop Header: Depth=2
	s_sleep 1
	s_clause 0x1
	global_load_dwordx2 v[22:23], v3, s[6:7] offset:40
	global_load_dwordx2 v[30:31], v3, s[6:7]
	v_mov_b32_e32 v24, v26
	v_mov_b32_e32 v25, v27
	s_waitcnt vmcnt(1)
	v_and_b32_e32 v2, v22, v24
	v_and_b32_e32 v22, v23, v25
	s_waitcnt vmcnt(0)
	v_mad_u64_u32 v[26:27], null, v2, 24, v[30:31]
	v_mov_b32_e32 v2, v27
	v_mad_u64_u32 v[22:23], null, v22, 24, v[2:3]
	v_mov_b32_e32 v27, v22
	global_load_dwordx2 v[22:23], v[26:27], off glc dlc
	s_waitcnt vmcnt(0)
	global_atomic_cmpswap_x2 v[26:27], v3, v[22:25], s[6:7] offset:24 glc
	s_waitcnt vmcnt(0)
	buffer_gl1_inv
	buffer_gl0_inv
	v_cmp_eq_u64_e32 vcc_lo, v[26:27], v[24:25]
	s_or_b32 s15, vcc_lo, s15
	s_andn2_b32 exec_lo, exec_lo, s15
	s_cbranch_execnz .LBB4_82
; %bb.83:                               ;   in Loop: Header=BB4_30 Depth=1
	s_or_b32 exec_lo, exec_lo, s15
.LBB4_84:                               ;   in Loop: Header=BB4_30 Depth=1
	s_or_b32 exec_lo, exec_lo, s14
.LBB4_85:                               ;   in Loop: Header=BB4_30 Depth=1
	s_or_b32 exec_lo, exec_lo, s5
	s_clause 0x1
	global_load_dwordx2 v[30:31], v3, s[6:7] offset:40
	global_load_dwordx4 v[22:25], v3, s[6:7]
	v_readfirstlane_b32 s14, v26
	v_readfirstlane_b32 s15, v27
	s_mov_b32 s5, exec_lo
	s_waitcnt vmcnt(1)
	v_readfirstlane_b32 s16, v30
	v_readfirstlane_b32 s17, v31
	s_and_b64 s[16:17], s[14:15], s[16:17]
	s_mul_i32 s19, s17, 24
	s_mul_hi_u32 s20, s16, 24
	s_mul_i32 s21, s16, 24
	s_add_i32 s20, s20, s19
	s_waitcnt vmcnt(0)
	v_add_co_u32 v26, vcc_lo, v22, s21
	v_add_co_ci_u32_e32 v27, vcc_lo, s20, v23, vcc_lo
	s_and_saveexec_b32 s19, s4
	s_cbranch_execz .LBB4_87
; %bb.86:                               ;   in Loop: Header=BB4_30 Depth=1
	v_mov_b32_e32 v2, s5
	global_store_dwordx4 v[26:27], v[2:5], off offset:8
.LBB4_87:                               ;   in Loop: Header=BB4_30 Depth=1
	s_or_b32 exec_lo, exec_lo, s19
	s_lshl_b64 s[16:17], s[16:17], 12
	v_or_b32_e32 v2, 2, v6
	v_add_co_u32 v24, vcc_lo, v24, s16
	v_add_co_ci_u32_e32 v25, vcc_lo, s17, v25, vcc_lo
	v_cmp_gt_u64_e64 vcc_lo, s[10:11], 56
	s_lshl_b32 s5, s12, 2
	v_readfirstlane_b32 s16, v24
	s_add_i32 s5, s5, 28
	v_readfirstlane_b32 s17, v25
	s_and_b32 s5, s5, 0x1e0
	v_cndmask_b32_e32 v2, v2, v6, vcc_lo
	v_and_or_b32 v6, 0xffffff1f, v2, s5
	global_store_dwordx4 v29, v[10:13], s[16:17] offset:16
	global_store_dwordx4 v29, v[6:9], s[16:17]
	global_store_dwordx4 v29, v[14:17], s[16:17] offset:32
	global_store_dwordx4 v29, v[18:21], s[16:17] offset:48
	s_and_saveexec_b32 s5, s4
	s_cbranch_execz .LBB4_95
; %bb.88:                               ;   in Loop: Header=BB4_30 Depth=1
	s_clause 0x1
	global_load_dwordx2 v[14:15], v3, s[6:7] offset:32 glc dlc
	global_load_dwordx2 v[6:7], v3, s[6:7] offset:40
	v_mov_b32_e32 v12, s14
	v_mov_b32_e32 v13, s15
	s_waitcnt vmcnt(0)
	v_readfirstlane_b32 s16, v6
	v_readfirstlane_b32 s17, v7
	s_and_b64 s[16:17], s[16:17], s[14:15]
	s_mul_i32 s17, s17, 24
	s_mul_hi_u32 s19, s16, 24
	s_mul_i32 s16, s16, 24
	s_add_i32 s19, s19, s17
	v_add_co_u32 v10, vcc_lo, v22, s16
	v_add_co_ci_u32_e32 v11, vcc_lo, s19, v23, vcc_lo
	s_mov_b32 s16, exec_lo
	global_store_dwordx2 v[10:11], v[14:15], off
	s_waitcnt_vscnt null, 0x0
	global_atomic_cmpswap_x2 v[8:9], v3, v[12:15], s[6:7] offset:32 glc
	s_waitcnt vmcnt(0)
	v_cmpx_ne_u64_e64 v[8:9], v[14:15]
	s_cbranch_execz .LBB4_91
; %bb.89:                               ;   in Loop: Header=BB4_30 Depth=1
	s_mov_b32 s17, 0
.LBB4_90:                               ;   Parent Loop BB4_30 Depth=1
                                        ; =>  This Inner Loop Header: Depth=2
	v_mov_b32_e32 v6, s14
	v_mov_b32_e32 v7, s15
	s_sleep 1
	global_store_dwordx2 v[10:11], v[8:9], off
	s_waitcnt_vscnt null, 0x0
	global_atomic_cmpswap_x2 v[6:7], v3, v[6:9], s[6:7] offset:32 glc
	s_waitcnt vmcnt(0)
	v_cmp_eq_u64_e32 vcc_lo, v[6:7], v[8:9]
	v_mov_b32_e32 v9, v7
	v_mov_b32_e32 v8, v6
	s_or_b32 s17, vcc_lo, s17
	s_andn2_b32 exec_lo, exec_lo, s17
	s_cbranch_execnz .LBB4_90
.LBB4_91:                               ;   in Loop: Header=BB4_30 Depth=1
	s_or_b32 exec_lo, exec_lo, s16
	global_load_dwordx2 v[6:7], v3, s[6:7] offset:16
	s_mov_b32 s17, exec_lo
	s_mov_b32 s16, exec_lo
	v_mbcnt_lo_u32_b32 v2, s17, 0
	v_cmpx_eq_u32_e32 0, v2
	s_cbranch_execz .LBB4_93
; %bb.92:                               ;   in Loop: Header=BB4_30 Depth=1
	s_bcnt1_i32_b32 s17, s17
	v_mov_b32_e32 v2, s17
	s_waitcnt vmcnt(0)
	global_atomic_add_x2 v[6:7], v[2:3], off offset:8
.LBB4_93:                               ;   in Loop: Header=BB4_30 Depth=1
	s_or_b32 exec_lo, exec_lo, s16
	s_waitcnt vmcnt(0)
	global_load_dwordx2 v[8:9], v[6:7], off offset:16
	s_waitcnt vmcnt(0)
	v_cmp_eq_u64_e32 vcc_lo, 0, v[8:9]
	s_cbranch_vccnz .LBB4_95
; %bb.94:                               ;   in Loop: Header=BB4_30 Depth=1
	global_load_dword v2, v[6:7], off offset:24
	s_waitcnt vmcnt(0)
	v_and_b32_e32 v6, 0x7fffff, v2
	s_waitcnt_vscnt null, 0x0
	global_store_dwordx2 v[8:9], v[2:3], off
	v_readfirstlane_b32 m0, v6
	s_sendmsg sendmsg(MSG_INTERRUPT)
.LBB4_95:                               ;   in Loop: Header=BB4_30 Depth=1
	s_or_b32 exec_lo, exec_lo, s5
	v_add_co_u32 v6, vcc_lo, v24, v29
	v_add_co_ci_u32_e32 v7, vcc_lo, 0, v25, vcc_lo
	s_branch .LBB4_99
	.p2align	6
.LBB4_96:                               ;   in Loop: Header=BB4_99 Depth=2
	s_or_b32 exec_lo, exec_lo, s5
	v_readfirstlane_b32 s5, v2
	s_cmp_eq_u32 s5, 0
	s_cbranch_scc1 .LBB4_98
; %bb.97:                               ;   in Loop: Header=BB4_99 Depth=2
	s_sleep 1
	s_cbranch_execnz .LBB4_99
	s_branch .LBB4_101
	.p2align	6
.LBB4_98:                               ;   in Loop: Header=BB4_30 Depth=1
	s_branch .LBB4_101
.LBB4_99:                               ;   Parent Loop BB4_30 Depth=1
                                        ; =>  This Inner Loop Header: Depth=2
	v_mov_b32_e32 v2, 1
	s_and_saveexec_b32 s5, s4
	s_cbranch_execz .LBB4_96
; %bb.100:                              ;   in Loop: Header=BB4_99 Depth=2
	global_load_dword v2, v[26:27], off offset:20 glc dlc
	s_waitcnt vmcnt(0)
	buffer_gl1_inv
	buffer_gl0_inv
	v_and_b32_e32 v2, 1, v2
	s_branch .LBB4_96
.LBB4_101:                              ;   in Loop: Header=BB4_30 Depth=1
	global_load_dwordx4 v[6:9], v[6:7], off
	s_and_saveexec_b32 s5, s4
	s_cbranch_execz .LBB4_29
; %bb.102:                              ;   in Loop: Header=BB4_30 Depth=1
	s_clause 0x2
	global_load_dwordx2 v[10:11], v3, s[6:7] offset:40
	global_load_dwordx2 v[14:15], v3, s[6:7] offset:24 glc dlc
	global_load_dwordx2 v[12:13], v3, s[6:7]
	s_waitcnt vmcnt(2)
	v_add_co_u32 v2, vcc_lo, v10, 1
	v_add_co_ci_u32_e32 v16, vcc_lo, 0, v11, vcc_lo
	v_add_co_u32 v8, vcc_lo, v2, s14
	v_add_co_ci_u32_e32 v9, vcc_lo, s15, v16, vcc_lo
	v_cmp_eq_u64_e32 vcc_lo, 0, v[8:9]
	v_cndmask_b32_e32 v9, v9, v16, vcc_lo
	v_cndmask_b32_e32 v8, v8, v2, vcc_lo
	v_and_b32_e32 v2, v9, v11
	v_and_b32_e32 v10, v8, v10
	v_mul_lo_u32 v2, v2, 24
	v_mul_hi_u32 v11, v10, 24
	v_mul_lo_u32 v10, v10, 24
	v_add_nc_u32_e32 v2, v11, v2
	s_waitcnt vmcnt(0)
	v_add_co_u32 v12, vcc_lo, v12, v10
	v_mov_b32_e32 v10, v14
	v_mov_b32_e32 v11, v15
	v_add_co_ci_u32_e32 v13, vcc_lo, v13, v2, vcc_lo
	global_store_dwordx2 v[12:13], v[14:15], off
	s_waitcnt_vscnt null, 0x0
	global_atomic_cmpswap_x2 v[10:11], v3, v[8:11], s[6:7] offset:24 glc
	s_waitcnt vmcnt(0)
	v_cmp_ne_u64_e32 vcc_lo, v[10:11], v[14:15]
	s_and_b32 exec_lo, exec_lo, vcc_lo
	s_cbranch_execz .LBB4_29
; %bb.103:                              ;   in Loop: Header=BB4_30 Depth=1
	s_mov_b32 s4, 0
.LBB4_104:                              ;   Parent Loop BB4_30 Depth=1
                                        ; =>  This Inner Loop Header: Depth=2
	s_sleep 1
	global_store_dwordx2 v[12:13], v[10:11], off
	s_waitcnt_vscnt null, 0x0
	global_atomic_cmpswap_x2 v[14:15], v3, v[8:11], s[6:7] offset:24 glc
	s_waitcnt vmcnt(0)
	v_cmp_eq_u64_e32 vcc_lo, v[14:15], v[10:11]
	v_mov_b32_e32 v10, v14
	v_mov_b32_e32 v11, v15
	s_or_b32 s4, vcc_lo, s4
	s_andn2_b32 exec_lo, exec_lo, s4
	s_cbranch_execnz .LBB4_104
	s_branch .LBB4_29
.LBB4_105:
.LBB4_106:
	s_andn2_saveexec_b32 s18, s18
	s_cbranch_execz .LBB4_263
.LBB4_107:
	v_readfirstlane_b32 s4, v28
	s_waitcnt vmcnt(0)
	v_mov_b32_e32 v6, 0
	v_mov_b32_e32 v7, 0
	v_cmp_eq_u32_e64 s4, s4, v28
	s_and_saveexec_b32 s5, s4
	s_cbranch_execz .LBB4_113
; %bb.108:
	v_mov_b32_e32 v0, 0
	s_mov_b32 s8, exec_lo
	s_waitcnt lgkmcnt(0)
	global_load_dwordx2 v[3:4], v0, s[6:7] offset:24 glc dlc
	s_waitcnt vmcnt(0)
	buffer_gl1_inv
	buffer_gl0_inv
	s_clause 0x1
	global_load_dwordx2 v[1:2], v0, s[6:7] offset:40
	global_load_dwordx2 v[5:6], v0, s[6:7]
	s_waitcnt vmcnt(1)
	v_and_b32_e32 v2, v2, v4
	v_and_b32_e32 v1, v1, v3
	v_mul_lo_u32 v2, v2, 24
	v_mul_hi_u32 v7, v1, 24
	v_mul_lo_u32 v1, v1, 24
	v_add_nc_u32_e32 v2, v7, v2
	s_waitcnt vmcnt(0)
	v_add_co_u32 v1, vcc_lo, v5, v1
	v_add_co_ci_u32_e32 v2, vcc_lo, v6, v2, vcc_lo
	global_load_dwordx2 v[1:2], v[1:2], off glc dlc
	s_waitcnt vmcnt(0)
	global_atomic_cmpswap_x2 v[6:7], v0, v[1:4], s[6:7] offset:24 glc
	s_waitcnt vmcnt(0)
	buffer_gl1_inv
	buffer_gl0_inv
	v_cmpx_ne_u64_e64 v[6:7], v[3:4]
	s_cbranch_execz .LBB4_112
; %bb.109:
	s_mov_b32 s9, 0
	.p2align	6
.LBB4_110:                              ; =>This Inner Loop Header: Depth=1
	s_sleep 1
	s_clause 0x1
	global_load_dwordx2 v[1:2], v0, s[6:7] offset:40
	global_load_dwordx2 v[8:9], v0, s[6:7]
	v_mov_b32_e32 v3, v6
	v_mov_b32_e32 v4, v7
	s_waitcnt vmcnt(1)
	v_and_b32_e32 v1, v1, v3
	v_and_b32_e32 v2, v2, v4
	s_waitcnt vmcnt(0)
	v_mad_u64_u32 v[5:6], null, v1, 24, v[8:9]
	v_mov_b32_e32 v1, v6
	v_mad_u64_u32 v[1:2], null, v2, 24, v[1:2]
	v_mov_b32_e32 v6, v1
	global_load_dwordx2 v[1:2], v[5:6], off glc dlc
	s_waitcnt vmcnt(0)
	global_atomic_cmpswap_x2 v[6:7], v0, v[1:4], s[6:7] offset:24 glc
	s_waitcnt vmcnt(0)
	buffer_gl1_inv
	buffer_gl0_inv
	v_cmp_eq_u64_e32 vcc_lo, v[6:7], v[3:4]
	s_or_b32 s9, vcc_lo, s9
	s_andn2_b32 exec_lo, exec_lo, s9
	s_cbranch_execnz .LBB4_110
; %bb.111:
	s_or_b32 exec_lo, exec_lo, s9
.LBB4_112:
	s_or_b32 exec_lo, exec_lo, s8
.LBB4_113:
	s_or_b32 exec_lo, exec_lo, s5
	v_mov_b32_e32 v5, 0
	v_readfirstlane_b32 s8, v6
	v_readfirstlane_b32 s9, v7
	s_mov_b32 s5, exec_lo
	s_waitcnt lgkmcnt(0)
	s_clause 0x1
	global_load_dwordx2 v[8:9], v5, s[6:7] offset:40
	global_load_dwordx4 v[0:3], v5, s[6:7]
	s_waitcnt vmcnt(1)
	v_readfirstlane_b32 s10, v8
	v_readfirstlane_b32 s11, v9
	s_and_b64 s[10:11], s[8:9], s[10:11]
	s_mul_i32 s12, s11, 24
	s_mul_hi_u32 s13, s10, 24
	s_mul_i32 s14, s10, 24
	s_add_i32 s13, s13, s12
	s_waitcnt vmcnt(0)
	v_add_co_u32 v8, vcc_lo, v0, s14
	v_add_co_ci_u32_e32 v9, vcc_lo, s13, v1, vcc_lo
	s_and_saveexec_b32 s12, s4
	s_cbranch_execz .LBB4_115
; %bb.114:
	v_mov_b32_e32 v4, s5
	v_mov_b32_e32 v6, 2
	;; [unrolled: 1-line block ×3, first 2 shown]
	global_store_dwordx4 v[8:9], v[4:7], off offset:8
.LBB4_115:
	s_or_b32 exec_lo, exec_lo, s12
	s_lshl_b64 s[10:11], s[10:11], 12
	v_lshlrev_b32_e32 v29, 6, v28
	v_add_co_u32 v2, vcc_lo, v2, s10
	v_add_co_ci_u32_e32 v3, vcc_lo, s11, v3, vcc_lo
	s_mov_b32 s12, 0
	v_add_co_u32 v10, vcc_lo, v2, v29
	s_mov_b32 s13, s12
	s_mov_b32 s14, s12
	;; [unrolled: 1-line block ×3, first 2 shown]
	v_mov_b32_e32 v4, 33
	v_mov_b32_e32 v6, v5
	;; [unrolled: 1-line block ×3, first 2 shown]
	v_readfirstlane_b32 s10, v2
	v_readfirstlane_b32 s11, v3
	v_mov_b32_e32 v12, s12
	v_add_co_ci_u32_e32 v11, vcc_lo, 0, v3, vcc_lo
	v_mov_b32_e32 v13, s13
	v_mov_b32_e32 v14, s14
	;; [unrolled: 1-line block ×3, first 2 shown]
	global_store_dwordx4 v29, v[4:7], s[10:11]
	global_store_dwordx4 v29, v[12:15], s[10:11] offset:16
	global_store_dwordx4 v29, v[12:15], s[10:11] offset:32
	;; [unrolled: 1-line block ×3, first 2 shown]
	s_and_saveexec_b32 s5, s4
	s_cbranch_execz .LBB4_123
; %bb.116:
	v_mov_b32_e32 v6, 0
	v_mov_b32_e32 v12, s8
	;; [unrolled: 1-line block ×3, first 2 shown]
	s_mov_b32 s10, exec_lo
	s_clause 0x1
	global_load_dwordx2 v[14:15], v6, s[6:7] offset:32 glc dlc
	global_load_dwordx2 v[2:3], v6, s[6:7] offset:40
	s_waitcnt vmcnt(0)
	v_and_b32_e32 v3, s9, v3
	v_and_b32_e32 v2, s8, v2
	v_mul_lo_u32 v3, v3, 24
	v_mul_hi_u32 v4, v2, 24
	v_mul_lo_u32 v2, v2, 24
	v_add_nc_u32_e32 v3, v4, v3
	v_add_co_u32 v4, vcc_lo, v0, v2
	v_add_co_ci_u32_e32 v5, vcc_lo, v1, v3, vcc_lo
	global_store_dwordx2 v[4:5], v[14:15], off
	s_waitcnt_vscnt null, 0x0
	global_atomic_cmpswap_x2 v[2:3], v6, v[12:15], s[6:7] offset:32 glc
	s_waitcnt vmcnt(0)
	v_cmpx_ne_u64_e64 v[2:3], v[14:15]
	s_cbranch_execz .LBB4_119
; %bb.117:
	s_mov_b32 s11, 0
.LBB4_118:                              ; =>This Inner Loop Header: Depth=1
	v_mov_b32_e32 v0, s8
	v_mov_b32_e32 v1, s9
	s_sleep 1
	global_store_dwordx2 v[4:5], v[2:3], off
	s_waitcnt_vscnt null, 0x0
	global_atomic_cmpswap_x2 v[0:1], v6, v[0:3], s[6:7] offset:32 glc
	s_waitcnt vmcnt(0)
	v_cmp_eq_u64_e32 vcc_lo, v[0:1], v[2:3]
	v_mov_b32_e32 v3, v1
	v_mov_b32_e32 v2, v0
	s_or_b32 s11, vcc_lo, s11
	s_andn2_b32 exec_lo, exec_lo, s11
	s_cbranch_execnz .LBB4_118
.LBB4_119:
	s_or_b32 exec_lo, exec_lo, s10
	v_mov_b32_e32 v3, 0
	s_mov_b32 s11, exec_lo
	s_mov_b32 s10, exec_lo
	v_mbcnt_lo_u32_b32 v2, s11, 0
	global_load_dwordx2 v[0:1], v3, s[6:7] offset:16
	v_cmpx_eq_u32_e32 0, v2
	s_cbranch_execz .LBB4_121
; %bb.120:
	s_bcnt1_i32_b32 s11, s11
	v_mov_b32_e32 v2, s11
	s_waitcnt vmcnt(0)
	global_atomic_add_x2 v[0:1], v[2:3], off offset:8
.LBB4_121:
	s_or_b32 exec_lo, exec_lo, s10
	s_waitcnt vmcnt(0)
	global_load_dwordx2 v[2:3], v[0:1], off offset:16
	s_waitcnt vmcnt(0)
	v_cmp_eq_u64_e32 vcc_lo, 0, v[2:3]
	s_cbranch_vccnz .LBB4_123
; %bb.122:
	global_load_dword v0, v[0:1], off offset:24
	v_mov_b32_e32 v1, 0
	s_waitcnt vmcnt(0)
	v_and_b32_e32 v4, 0x7fffff, v0
	s_waitcnt_vscnt null, 0x0
	global_store_dwordx2 v[2:3], v[0:1], off
	v_readfirstlane_b32 m0, v4
	s_sendmsg sendmsg(MSG_INTERRUPT)
.LBB4_123:
	s_or_b32 exec_lo, exec_lo, s5
	s_branch .LBB4_127
	.p2align	6
.LBB4_124:                              ;   in Loop: Header=BB4_127 Depth=1
	s_or_b32 exec_lo, exec_lo, s5
	v_readfirstlane_b32 s5, v0
	s_cmp_eq_u32 s5, 0
	s_cbranch_scc1 .LBB4_126
; %bb.125:                              ;   in Loop: Header=BB4_127 Depth=1
	s_sleep 1
	s_cbranch_execnz .LBB4_127
	s_branch .LBB4_129
	.p2align	6
.LBB4_126:
	s_branch .LBB4_129
.LBB4_127:                              ; =>This Inner Loop Header: Depth=1
	v_mov_b32_e32 v0, 1
	s_and_saveexec_b32 s5, s4
	s_cbranch_execz .LBB4_124
; %bb.128:                              ;   in Loop: Header=BB4_127 Depth=1
	global_load_dword v0, v[8:9], off offset:20 glc dlc
	s_waitcnt vmcnt(0)
	buffer_gl1_inv
	buffer_gl0_inv
	v_and_b32_e32 v0, 1, v0
	s_branch .LBB4_124
.LBB4_129:
	global_load_dwordx2 v[0:1], v[10:11], off
	s_and_saveexec_b32 s5, s4
	s_cbranch_execz .LBB4_133
; %bb.130:
	v_mov_b32_e32 v8, 0
	s_clause 0x2
	global_load_dwordx2 v[4:5], v8, s[6:7] offset:40
	global_load_dwordx2 v[9:10], v8, s[6:7] offset:24 glc dlc
	global_load_dwordx2 v[6:7], v8, s[6:7]
	s_waitcnt vmcnt(2)
	v_add_co_u32 v11, vcc_lo, v4, 1
	v_add_co_ci_u32_e32 v12, vcc_lo, 0, v5, vcc_lo
	v_add_co_u32 v2, vcc_lo, v11, s8
	v_add_co_ci_u32_e32 v3, vcc_lo, s9, v12, vcc_lo
	v_cmp_eq_u64_e32 vcc_lo, 0, v[2:3]
	v_cndmask_b32_e32 v3, v3, v12, vcc_lo
	v_cndmask_b32_e32 v2, v2, v11, vcc_lo
	v_and_b32_e32 v5, v3, v5
	v_and_b32_e32 v4, v2, v4
	v_mul_lo_u32 v5, v5, 24
	v_mul_hi_u32 v11, v4, 24
	v_mul_lo_u32 v4, v4, 24
	v_add_nc_u32_e32 v5, v11, v5
	s_waitcnt vmcnt(0)
	v_add_co_u32 v6, vcc_lo, v6, v4
	v_mov_b32_e32 v4, v9
	v_add_co_ci_u32_e32 v7, vcc_lo, v7, v5, vcc_lo
	v_mov_b32_e32 v5, v10
	global_store_dwordx2 v[6:7], v[9:10], off
	s_waitcnt_vscnt null, 0x0
	global_atomic_cmpswap_x2 v[4:5], v8, v[2:5], s[6:7] offset:24 glc
	s_waitcnt vmcnt(0)
	v_cmp_ne_u64_e32 vcc_lo, v[4:5], v[9:10]
	s_and_b32 exec_lo, exec_lo, vcc_lo
	s_cbranch_execz .LBB4_133
; %bb.131:
	s_mov_b32 s4, 0
.LBB4_132:                              ; =>This Inner Loop Header: Depth=1
	s_sleep 1
	global_store_dwordx2 v[6:7], v[4:5], off
	s_waitcnt_vscnt null, 0x0
	global_atomic_cmpswap_x2 v[9:10], v8, v[2:5], s[6:7] offset:24 glc
	s_waitcnt vmcnt(0)
	v_cmp_eq_u64_e32 vcc_lo, v[9:10], v[4:5]
	v_mov_b32_e32 v4, v9
	v_mov_b32_e32 v5, v10
	s_or_b32 s4, vcc_lo, s4
	s_andn2_b32 exec_lo, exec_lo, s4
	s_cbranch_execnz .LBB4_132
.LBB4_133:
	s_or_b32 exec_lo, exec_lo, s5
	s_getpc_b64 s[8:9]
	s_add_u32 s8, s8, .str.26@rel32@lo+4
	s_addc_u32 s9, s9, .str.26@rel32@hi+12
	s_cmp_lg_u64 s[8:9], 0
	s_cbranch_scc0 .LBB4_240
; %bb.134:
	s_waitcnt vmcnt(0)
	v_and_b32_e32 v6, -3, v0
	v_mov_b32_e32 v7, v1
	v_mov_b32_e32 v3, 0
	;; [unrolled: 1-line block ×4, first 2 shown]
	s_mov_b64 s[10:11], 5
	s_branch .LBB4_136
.LBB4_135:                              ;   in Loop: Header=BB4_136 Depth=1
	s_or_b32 exec_lo, exec_lo, s5
	s_sub_u32 s10, s10, s12
	s_subb_u32 s11, s11, s13
	s_add_u32 s8, s8, s12
	s_addc_u32 s9, s9, s13
	s_cmp_eq_u64 s[10:11], 0
	s_cbranch_scc1 .LBB4_211
.LBB4_136:                              ; =>This Loop Header: Depth=1
                                        ;     Child Loop BB4_145 Depth 2
                                        ;     Child Loop BB4_141 Depth 2
	;; [unrolled: 1-line block ×11, first 2 shown]
	v_cmp_lt_u64_e64 s4, s[10:11], 56
	v_cmp_gt_u64_e64 s5, s[10:11], 7
                                        ; implicit-def: $sgpr19
	s_and_b32 s4, s4, exec_lo
	s_cselect_b32 s13, s11, 0
	s_cselect_b32 s12, s10, 56
	s_and_b32 vcc_lo, exec_lo, s5
	s_mov_b32 s4, -1
	s_cbranch_vccz .LBB4_143
; %bb.137:                              ;   in Loop: Header=BB4_136 Depth=1
	s_andn2_b32 vcc_lo, exec_lo, s4
	s_mov_b64 s[4:5], s[8:9]
	s_cbranch_vccz .LBB4_147
.LBB4_138:                              ;   in Loop: Header=BB4_136 Depth=1
	s_cmp_gt_u32 s19, 7
	s_cbranch_scc1 .LBB4_148
.LBB4_139:                              ;   in Loop: Header=BB4_136 Depth=1
	v_mov_b32_e32 v10, 0
	v_mov_b32_e32 v11, 0
	s_cmp_eq_u32 s19, 0
	s_cbranch_scc1 .LBB4_142
; %bb.140:                              ;   in Loop: Header=BB4_136 Depth=1
	s_mov_b64 s[14:15], 0
	s_mov_b64 s[16:17], 0
.LBB4_141:                              ;   Parent Loop BB4_136 Depth=1
                                        ; =>  This Inner Loop Header: Depth=2
	s_add_u32 s20, s4, s16
	s_addc_u32 s21, s5, s17
	s_add_u32 s16, s16, 1
	global_load_ubyte v2, v3, s[20:21]
	s_addc_u32 s17, s17, 0
	s_waitcnt vmcnt(0)
	v_and_b32_e32 v2, 0xffff, v2
	v_lshlrev_b64 v[12:13], s14, v[2:3]
	s_add_u32 s14, s14, 8
	s_addc_u32 s15, s15, 0
	s_cmp_lg_u32 s19, s16
	v_or_b32_e32 v10, v12, v10
	v_or_b32_e32 v11, v13, v11
	s_cbranch_scc1 .LBB4_141
.LBB4_142:                              ;   in Loop: Header=BB4_136 Depth=1
	s_mov_b32 s20, 0
	s_cbranch_execz .LBB4_149
	s_branch .LBB4_150
.LBB4_143:                              ;   in Loop: Header=BB4_136 Depth=1
	s_waitcnt vmcnt(0)
	v_mov_b32_e32 v8, 0
	v_mov_b32_e32 v9, 0
	s_cmp_eq_u64 s[10:11], 0
	s_mov_b64 s[4:5], 0
	s_cbranch_scc1 .LBB4_146
; %bb.144:                              ;   in Loop: Header=BB4_136 Depth=1
	v_mov_b32_e32 v8, 0
	v_mov_b32_e32 v9, 0
	s_lshl_b64 s[14:15], s[12:13], 3
	s_mov_b64 s[16:17], s[8:9]
.LBB4_145:                              ;   Parent Loop BB4_136 Depth=1
                                        ; =>  This Inner Loop Header: Depth=2
	global_load_ubyte v2, v3, s[16:17]
	s_waitcnt vmcnt(0)
	v_and_b32_e32 v2, 0xffff, v2
	v_lshlrev_b64 v[10:11], s4, v[2:3]
	s_add_u32 s4, s4, 8
	s_addc_u32 s5, s5, 0
	s_add_u32 s16, s16, 1
	s_addc_u32 s17, s17, 0
	s_cmp_lg_u32 s14, s4
	v_or_b32_e32 v8, v10, v8
	v_or_b32_e32 v9, v11, v9
	s_cbranch_scc1 .LBB4_145
.LBB4_146:                              ;   in Loop: Header=BB4_136 Depth=1
	s_mov_b32 s19, 0
	s_mov_b64 s[4:5], s[8:9]
	s_cbranch_execnz .LBB4_138
.LBB4_147:                              ;   in Loop: Header=BB4_136 Depth=1
	global_load_dwordx2 v[8:9], v3, s[8:9]
	s_add_i32 s19, s12, -8
	s_add_u32 s4, s8, 8
	s_addc_u32 s5, s9, 0
	s_cmp_gt_u32 s19, 7
	s_cbranch_scc0 .LBB4_139
.LBB4_148:                              ;   in Loop: Header=BB4_136 Depth=1
                                        ; implicit-def: $vgpr10_vgpr11
                                        ; implicit-def: $sgpr20
.LBB4_149:                              ;   in Loop: Header=BB4_136 Depth=1
	global_load_dwordx2 v[10:11], v3, s[4:5]
	s_add_i32 s20, s19, -8
	s_add_u32 s4, s4, 8
	s_addc_u32 s5, s5, 0
.LBB4_150:                              ;   in Loop: Header=BB4_136 Depth=1
	s_cmp_gt_u32 s20, 7
	s_cbranch_scc1 .LBB4_155
; %bb.151:                              ;   in Loop: Header=BB4_136 Depth=1
	v_mov_b32_e32 v12, 0
	v_mov_b32_e32 v13, 0
	s_cmp_eq_u32 s20, 0
	s_cbranch_scc1 .LBB4_154
; %bb.152:                              ;   in Loop: Header=BB4_136 Depth=1
	s_mov_b64 s[14:15], 0
	s_mov_b64 s[16:17], 0
.LBB4_153:                              ;   Parent Loop BB4_136 Depth=1
                                        ; =>  This Inner Loop Header: Depth=2
	s_add_u32 s22, s4, s16
	s_addc_u32 s23, s5, s17
	s_add_u32 s16, s16, 1
	global_load_ubyte v2, v3, s[22:23]
	s_addc_u32 s17, s17, 0
	s_waitcnt vmcnt(0)
	v_and_b32_e32 v2, 0xffff, v2
	v_lshlrev_b64 v[14:15], s14, v[2:3]
	s_add_u32 s14, s14, 8
	s_addc_u32 s15, s15, 0
	s_cmp_lg_u32 s20, s16
	v_or_b32_e32 v12, v14, v12
	v_or_b32_e32 v13, v15, v13
	s_cbranch_scc1 .LBB4_153
.LBB4_154:                              ;   in Loop: Header=BB4_136 Depth=1
	s_mov_b32 s19, 0
	s_cbranch_execz .LBB4_156
	s_branch .LBB4_157
.LBB4_155:                              ;   in Loop: Header=BB4_136 Depth=1
                                        ; implicit-def: $sgpr19
.LBB4_156:                              ;   in Loop: Header=BB4_136 Depth=1
	global_load_dwordx2 v[12:13], v3, s[4:5]
	s_add_i32 s19, s20, -8
	s_add_u32 s4, s4, 8
	s_addc_u32 s5, s5, 0
.LBB4_157:                              ;   in Loop: Header=BB4_136 Depth=1
	s_cmp_gt_u32 s19, 7
	s_cbranch_scc1 .LBB4_162
; %bb.158:                              ;   in Loop: Header=BB4_136 Depth=1
	v_mov_b32_e32 v14, 0
	v_mov_b32_e32 v15, 0
	s_cmp_eq_u32 s19, 0
	s_cbranch_scc1 .LBB4_161
; %bb.159:                              ;   in Loop: Header=BB4_136 Depth=1
	s_mov_b64 s[14:15], 0
	s_mov_b64 s[16:17], 0
.LBB4_160:                              ;   Parent Loop BB4_136 Depth=1
                                        ; =>  This Inner Loop Header: Depth=2
	s_add_u32 s20, s4, s16
	s_addc_u32 s21, s5, s17
	s_add_u32 s16, s16, 1
	global_load_ubyte v2, v3, s[20:21]
	s_addc_u32 s17, s17, 0
	s_waitcnt vmcnt(0)
	v_and_b32_e32 v2, 0xffff, v2
	v_lshlrev_b64 v[16:17], s14, v[2:3]
	s_add_u32 s14, s14, 8
	s_addc_u32 s15, s15, 0
	s_cmp_lg_u32 s19, s16
	v_or_b32_e32 v14, v16, v14
	v_or_b32_e32 v15, v17, v15
	s_cbranch_scc1 .LBB4_160
.LBB4_161:                              ;   in Loop: Header=BB4_136 Depth=1
	s_mov_b32 s20, 0
	s_cbranch_execz .LBB4_163
	s_branch .LBB4_164
.LBB4_162:                              ;   in Loop: Header=BB4_136 Depth=1
                                        ; implicit-def: $vgpr14_vgpr15
                                        ; implicit-def: $sgpr20
.LBB4_163:                              ;   in Loop: Header=BB4_136 Depth=1
	global_load_dwordx2 v[14:15], v3, s[4:5]
	s_add_i32 s20, s19, -8
	s_add_u32 s4, s4, 8
	s_addc_u32 s5, s5, 0
.LBB4_164:                              ;   in Loop: Header=BB4_136 Depth=1
	s_cmp_gt_u32 s20, 7
	s_cbranch_scc1 .LBB4_169
; %bb.165:                              ;   in Loop: Header=BB4_136 Depth=1
	v_mov_b32_e32 v16, 0
	v_mov_b32_e32 v17, 0
	s_cmp_eq_u32 s20, 0
	s_cbranch_scc1 .LBB4_168
; %bb.166:                              ;   in Loop: Header=BB4_136 Depth=1
	s_mov_b64 s[14:15], 0
	s_mov_b64 s[16:17], 0
.LBB4_167:                              ;   Parent Loop BB4_136 Depth=1
                                        ; =>  This Inner Loop Header: Depth=2
	s_add_u32 s22, s4, s16
	s_addc_u32 s23, s5, s17
	s_add_u32 s16, s16, 1
	global_load_ubyte v2, v3, s[22:23]
	s_addc_u32 s17, s17, 0
	s_waitcnt vmcnt(0)
	v_and_b32_e32 v2, 0xffff, v2
	v_lshlrev_b64 v[18:19], s14, v[2:3]
	s_add_u32 s14, s14, 8
	s_addc_u32 s15, s15, 0
	s_cmp_lg_u32 s20, s16
	v_or_b32_e32 v16, v18, v16
	v_or_b32_e32 v17, v19, v17
	s_cbranch_scc1 .LBB4_167
.LBB4_168:                              ;   in Loop: Header=BB4_136 Depth=1
	s_mov_b32 s19, 0
	s_cbranch_execz .LBB4_170
	s_branch .LBB4_171
.LBB4_169:                              ;   in Loop: Header=BB4_136 Depth=1
                                        ; implicit-def: $sgpr19
.LBB4_170:                              ;   in Loop: Header=BB4_136 Depth=1
	global_load_dwordx2 v[16:17], v3, s[4:5]
	s_add_i32 s19, s20, -8
	s_add_u32 s4, s4, 8
	s_addc_u32 s5, s5, 0
.LBB4_171:                              ;   in Loop: Header=BB4_136 Depth=1
	s_cmp_gt_u32 s19, 7
	s_cbranch_scc1 .LBB4_176
; %bb.172:                              ;   in Loop: Header=BB4_136 Depth=1
	v_mov_b32_e32 v18, 0
	v_mov_b32_e32 v19, 0
	s_cmp_eq_u32 s19, 0
	s_cbranch_scc1 .LBB4_175
; %bb.173:                              ;   in Loop: Header=BB4_136 Depth=1
	s_mov_b64 s[14:15], 0
	s_mov_b64 s[16:17], 0
.LBB4_174:                              ;   Parent Loop BB4_136 Depth=1
                                        ; =>  This Inner Loop Header: Depth=2
	s_add_u32 s20, s4, s16
	s_addc_u32 s21, s5, s17
	s_add_u32 s16, s16, 1
	global_load_ubyte v2, v3, s[20:21]
	s_addc_u32 s17, s17, 0
	s_waitcnt vmcnt(0)
	v_and_b32_e32 v2, 0xffff, v2
	v_lshlrev_b64 v[20:21], s14, v[2:3]
	s_add_u32 s14, s14, 8
	s_addc_u32 s15, s15, 0
	s_cmp_lg_u32 s19, s16
	v_or_b32_e32 v18, v20, v18
	v_or_b32_e32 v19, v21, v19
	s_cbranch_scc1 .LBB4_174
.LBB4_175:                              ;   in Loop: Header=BB4_136 Depth=1
	s_mov_b32 s20, 0
	s_cbranch_execz .LBB4_177
	s_branch .LBB4_178
.LBB4_176:                              ;   in Loop: Header=BB4_136 Depth=1
                                        ; implicit-def: $vgpr18_vgpr19
                                        ; implicit-def: $sgpr20
.LBB4_177:                              ;   in Loop: Header=BB4_136 Depth=1
	global_load_dwordx2 v[18:19], v3, s[4:5]
	s_add_i32 s20, s19, -8
	s_add_u32 s4, s4, 8
	s_addc_u32 s5, s5, 0
.LBB4_178:                              ;   in Loop: Header=BB4_136 Depth=1
	s_cmp_gt_u32 s20, 7
	s_cbranch_scc1 .LBB4_183
; %bb.179:                              ;   in Loop: Header=BB4_136 Depth=1
	v_mov_b32_e32 v20, 0
	v_mov_b32_e32 v21, 0
	s_cmp_eq_u32 s20, 0
	s_cbranch_scc1 .LBB4_182
; %bb.180:                              ;   in Loop: Header=BB4_136 Depth=1
	s_mov_b64 s[14:15], 0
	s_mov_b64 s[16:17], s[4:5]
.LBB4_181:                              ;   Parent Loop BB4_136 Depth=1
                                        ; =>  This Inner Loop Header: Depth=2
	global_load_ubyte v2, v3, s[16:17]
	s_add_i32 s20, s20, -1
	s_waitcnt vmcnt(0)
	v_and_b32_e32 v2, 0xffff, v2
	v_lshlrev_b64 v[22:23], s14, v[2:3]
	s_add_u32 s14, s14, 8
	s_addc_u32 s15, s15, 0
	s_add_u32 s16, s16, 1
	s_addc_u32 s17, s17, 0
	s_cmp_lg_u32 s20, 0
	v_or_b32_e32 v20, v22, v20
	v_or_b32_e32 v21, v23, v21
	s_cbranch_scc1 .LBB4_181
.LBB4_182:                              ;   in Loop: Header=BB4_136 Depth=1
	s_cbranch_execz .LBB4_184
	s_branch .LBB4_185
.LBB4_183:                              ;   in Loop: Header=BB4_136 Depth=1
.LBB4_184:                              ;   in Loop: Header=BB4_136 Depth=1
	global_load_dwordx2 v[20:21], v3, s[4:5]
.LBB4_185:                              ;   in Loop: Header=BB4_136 Depth=1
	v_readfirstlane_b32 s4, v28
	v_mov_b32_e32 v26, 0
	v_mov_b32_e32 v27, 0
	v_cmp_eq_u32_e64 s4, s4, v28
	s_and_saveexec_b32 s5, s4
	s_cbranch_execz .LBB4_191
; %bb.186:                              ;   in Loop: Header=BB4_136 Depth=1
	global_load_dwordx2 v[24:25], v3, s[6:7] offset:24 glc dlc
	s_waitcnt vmcnt(0)
	buffer_gl1_inv
	buffer_gl0_inv
	s_clause 0x1
	global_load_dwordx2 v[22:23], v3, s[6:7] offset:40
	global_load_dwordx2 v[26:27], v3, s[6:7]
	s_mov_b32 s14, exec_lo
	s_waitcnt vmcnt(1)
	v_and_b32_e32 v2, v23, v25
	v_and_b32_e32 v22, v22, v24
	v_mul_lo_u32 v2, v2, 24
	v_mul_hi_u32 v23, v22, 24
	v_mul_lo_u32 v22, v22, 24
	v_add_nc_u32_e32 v2, v23, v2
	s_waitcnt vmcnt(0)
	v_add_co_u32 v22, vcc_lo, v26, v22
	v_add_co_ci_u32_e32 v23, vcc_lo, v27, v2, vcc_lo
	global_load_dwordx2 v[22:23], v[22:23], off glc dlc
	s_waitcnt vmcnt(0)
	global_atomic_cmpswap_x2 v[26:27], v3, v[22:25], s[6:7] offset:24 glc
	s_waitcnt vmcnt(0)
	buffer_gl1_inv
	buffer_gl0_inv
	v_cmpx_ne_u64_e64 v[26:27], v[24:25]
	s_cbranch_execz .LBB4_190
; %bb.187:                              ;   in Loop: Header=BB4_136 Depth=1
	s_mov_b32 s15, 0
	.p2align	6
.LBB4_188:                              ;   Parent Loop BB4_136 Depth=1
                                        ; =>  This Inner Loop Header: Depth=2
	s_sleep 1
	s_clause 0x1
	global_load_dwordx2 v[22:23], v3, s[6:7] offset:40
	global_load_dwordx2 v[30:31], v3, s[6:7]
	v_mov_b32_e32 v24, v26
	v_mov_b32_e32 v25, v27
	s_waitcnt vmcnt(1)
	v_and_b32_e32 v2, v22, v24
	v_and_b32_e32 v22, v23, v25
	s_waitcnt vmcnt(0)
	v_mad_u64_u32 v[26:27], null, v2, 24, v[30:31]
	v_mov_b32_e32 v2, v27
	v_mad_u64_u32 v[22:23], null, v22, 24, v[2:3]
	v_mov_b32_e32 v27, v22
	global_load_dwordx2 v[22:23], v[26:27], off glc dlc
	s_waitcnt vmcnt(0)
	global_atomic_cmpswap_x2 v[26:27], v3, v[22:25], s[6:7] offset:24 glc
	s_waitcnt vmcnt(0)
	buffer_gl1_inv
	buffer_gl0_inv
	v_cmp_eq_u64_e32 vcc_lo, v[26:27], v[24:25]
	s_or_b32 s15, vcc_lo, s15
	s_andn2_b32 exec_lo, exec_lo, s15
	s_cbranch_execnz .LBB4_188
; %bb.189:                              ;   in Loop: Header=BB4_136 Depth=1
	s_or_b32 exec_lo, exec_lo, s15
.LBB4_190:                              ;   in Loop: Header=BB4_136 Depth=1
	s_or_b32 exec_lo, exec_lo, s14
.LBB4_191:                              ;   in Loop: Header=BB4_136 Depth=1
	s_or_b32 exec_lo, exec_lo, s5
	s_clause 0x1
	global_load_dwordx2 v[30:31], v3, s[6:7] offset:40
	global_load_dwordx4 v[22:25], v3, s[6:7]
	v_readfirstlane_b32 s14, v26
	v_readfirstlane_b32 s15, v27
	s_mov_b32 s5, exec_lo
	s_waitcnt vmcnt(1)
	v_readfirstlane_b32 s16, v30
	v_readfirstlane_b32 s17, v31
	s_and_b64 s[16:17], s[14:15], s[16:17]
	s_mul_i32 s19, s17, 24
	s_mul_hi_u32 s20, s16, 24
	s_mul_i32 s21, s16, 24
	s_add_i32 s20, s20, s19
	s_waitcnt vmcnt(0)
	v_add_co_u32 v26, vcc_lo, v22, s21
	v_add_co_ci_u32_e32 v27, vcc_lo, s20, v23, vcc_lo
	s_and_saveexec_b32 s19, s4
	s_cbranch_execz .LBB4_193
; %bb.192:                              ;   in Loop: Header=BB4_136 Depth=1
	v_mov_b32_e32 v2, s5
	global_store_dwordx4 v[26:27], v[2:5], off offset:8
.LBB4_193:                              ;   in Loop: Header=BB4_136 Depth=1
	s_or_b32 exec_lo, exec_lo, s19
	s_lshl_b64 s[16:17], s[16:17], 12
	v_or_b32_e32 v2, 2, v6
	v_add_co_u32 v24, vcc_lo, v24, s16
	v_add_co_ci_u32_e32 v25, vcc_lo, s17, v25, vcc_lo
	v_cmp_gt_u64_e64 vcc_lo, s[10:11], 56
	s_lshl_b32 s5, s12, 2
	v_readfirstlane_b32 s16, v24
	s_add_i32 s5, s5, 28
	v_readfirstlane_b32 s17, v25
	s_and_b32 s5, s5, 0x1e0
	v_cndmask_b32_e32 v2, v2, v6, vcc_lo
	v_and_or_b32 v6, 0xffffff1f, v2, s5
	global_store_dwordx4 v29, v[10:13], s[16:17] offset:16
	global_store_dwordx4 v29, v[6:9], s[16:17]
	global_store_dwordx4 v29, v[14:17], s[16:17] offset:32
	global_store_dwordx4 v29, v[18:21], s[16:17] offset:48
	s_and_saveexec_b32 s5, s4
	s_cbranch_execz .LBB4_201
; %bb.194:                              ;   in Loop: Header=BB4_136 Depth=1
	s_clause 0x1
	global_load_dwordx2 v[14:15], v3, s[6:7] offset:32 glc dlc
	global_load_dwordx2 v[6:7], v3, s[6:7] offset:40
	v_mov_b32_e32 v12, s14
	v_mov_b32_e32 v13, s15
	s_waitcnt vmcnt(0)
	v_readfirstlane_b32 s16, v6
	v_readfirstlane_b32 s17, v7
	s_and_b64 s[16:17], s[16:17], s[14:15]
	s_mul_i32 s17, s17, 24
	s_mul_hi_u32 s19, s16, 24
	s_mul_i32 s16, s16, 24
	s_add_i32 s19, s19, s17
	v_add_co_u32 v10, vcc_lo, v22, s16
	v_add_co_ci_u32_e32 v11, vcc_lo, s19, v23, vcc_lo
	s_mov_b32 s16, exec_lo
	global_store_dwordx2 v[10:11], v[14:15], off
	s_waitcnt_vscnt null, 0x0
	global_atomic_cmpswap_x2 v[8:9], v3, v[12:15], s[6:7] offset:32 glc
	s_waitcnt vmcnt(0)
	v_cmpx_ne_u64_e64 v[8:9], v[14:15]
	s_cbranch_execz .LBB4_197
; %bb.195:                              ;   in Loop: Header=BB4_136 Depth=1
	s_mov_b32 s17, 0
.LBB4_196:                              ;   Parent Loop BB4_136 Depth=1
                                        ; =>  This Inner Loop Header: Depth=2
	v_mov_b32_e32 v6, s14
	v_mov_b32_e32 v7, s15
	s_sleep 1
	global_store_dwordx2 v[10:11], v[8:9], off
	s_waitcnt_vscnt null, 0x0
	global_atomic_cmpswap_x2 v[6:7], v3, v[6:9], s[6:7] offset:32 glc
	s_waitcnt vmcnt(0)
	v_cmp_eq_u64_e32 vcc_lo, v[6:7], v[8:9]
	v_mov_b32_e32 v9, v7
	v_mov_b32_e32 v8, v6
	s_or_b32 s17, vcc_lo, s17
	s_andn2_b32 exec_lo, exec_lo, s17
	s_cbranch_execnz .LBB4_196
.LBB4_197:                              ;   in Loop: Header=BB4_136 Depth=1
	s_or_b32 exec_lo, exec_lo, s16
	global_load_dwordx2 v[6:7], v3, s[6:7] offset:16
	s_mov_b32 s17, exec_lo
	s_mov_b32 s16, exec_lo
	v_mbcnt_lo_u32_b32 v2, s17, 0
	v_cmpx_eq_u32_e32 0, v2
	s_cbranch_execz .LBB4_199
; %bb.198:                              ;   in Loop: Header=BB4_136 Depth=1
	s_bcnt1_i32_b32 s17, s17
	v_mov_b32_e32 v2, s17
	s_waitcnt vmcnt(0)
	global_atomic_add_x2 v[6:7], v[2:3], off offset:8
.LBB4_199:                              ;   in Loop: Header=BB4_136 Depth=1
	s_or_b32 exec_lo, exec_lo, s16
	s_waitcnt vmcnt(0)
	global_load_dwordx2 v[8:9], v[6:7], off offset:16
	s_waitcnt vmcnt(0)
	v_cmp_eq_u64_e32 vcc_lo, 0, v[8:9]
	s_cbranch_vccnz .LBB4_201
; %bb.200:                              ;   in Loop: Header=BB4_136 Depth=1
	global_load_dword v2, v[6:7], off offset:24
	s_waitcnt vmcnt(0)
	v_and_b32_e32 v6, 0x7fffff, v2
	s_waitcnt_vscnt null, 0x0
	global_store_dwordx2 v[8:9], v[2:3], off
	v_readfirstlane_b32 m0, v6
	s_sendmsg sendmsg(MSG_INTERRUPT)
.LBB4_201:                              ;   in Loop: Header=BB4_136 Depth=1
	s_or_b32 exec_lo, exec_lo, s5
	v_add_co_u32 v6, vcc_lo, v24, v29
	v_add_co_ci_u32_e32 v7, vcc_lo, 0, v25, vcc_lo
	s_branch .LBB4_205
	.p2align	6
.LBB4_202:                              ;   in Loop: Header=BB4_205 Depth=2
	s_or_b32 exec_lo, exec_lo, s5
	v_readfirstlane_b32 s5, v2
	s_cmp_eq_u32 s5, 0
	s_cbranch_scc1 .LBB4_204
; %bb.203:                              ;   in Loop: Header=BB4_205 Depth=2
	s_sleep 1
	s_cbranch_execnz .LBB4_205
	s_branch .LBB4_207
	.p2align	6
.LBB4_204:                              ;   in Loop: Header=BB4_136 Depth=1
	s_branch .LBB4_207
.LBB4_205:                              ;   Parent Loop BB4_136 Depth=1
                                        ; =>  This Inner Loop Header: Depth=2
	v_mov_b32_e32 v2, 1
	s_and_saveexec_b32 s5, s4
	s_cbranch_execz .LBB4_202
; %bb.206:                              ;   in Loop: Header=BB4_205 Depth=2
	global_load_dword v2, v[26:27], off offset:20 glc dlc
	s_waitcnt vmcnt(0)
	buffer_gl1_inv
	buffer_gl0_inv
	v_and_b32_e32 v2, 1, v2
	s_branch .LBB4_202
.LBB4_207:                              ;   in Loop: Header=BB4_136 Depth=1
	global_load_dwordx4 v[6:9], v[6:7], off
	s_and_saveexec_b32 s5, s4
	s_cbranch_execz .LBB4_135
; %bb.208:                              ;   in Loop: Header=BB4_136 Depth=1
	s_clause 0x2
	global_load_dwordx2 v[10:11], v3, s[6:7] offset:40
	global_load_dwordx2 v[14:15], v3, s[6:7] offset:24 glc dlc
	global_load_dwordx2 v[12:13], v3, s[6:7]
	s_waitcnt vmcnt(2)
	v_add_co_u32 v2, vcc_lo, v10, 1
	v_add_co_ci_u32_e32 v16, vcc_lo, 0, v11, vcc_lo
	v_add_co_u32 v8, vcc_lo, v2, s14
	v_add_co_ci_u32_e32 v9, vcc_lo, s15, v16, vcc_lo
	v_cmp_eq_u64_e32 vcc_lo, 0, v[8:9]
	v_cndmask_b32_e32 v9, v9, v16, vcc_lo
	v_cndmask_b32_e32 v8, v8, v2, vcc_lo
	v_and_b32_e32 v2, v9, v11
	v_and_b32_e32 v10, v8, v10
	v_mul_lo_u32 v2, v2, 24
	v_mul_hi_u32 v11, v10, 24
	v_mul_lo_u32 v10, v10, 24
	v_add_nc_u32_e32 v2, v11, v2
	s_waitcnt vmcnt(0)
	v_add_co_u32 v12, vcc_lo, v12, v10
	v_mov_b32_e32 v10, v14
	v_mov_b32_e32 v11, v15
	v_add_co_ci_u32_e32 v13, vcc_lo, v13, v2, vcc_lo
	global_store_dwordx2 v[12:13], v[14:15], off
	s_waitcnt_vscnt null, 0x0
	global_atomic_cmpswap_x2 v[10:11], v3, v[8:11], s[6:7] offset:24 glc
	s_waitcnt vmcnt(0)
	v_cmp_ne_u64_e32 vcc_lo, v[10:11], v[14:15]
	s_and_b32 exec_lo, exec_lo, vcc_lo
	s_cbranch_execz .LBB4_135
; %bb.209:                              ;   in Loop: Header=BB4_136 Depth=1
	s_mov_b32 s4, 0
.LBB4_210:                              ;   Parent Loop BB4_136 Depth=1
                                        ; =>  This Inner Loop Header: Depth=2
	s_sleep 1
	global_store_dwordx2 v[12:13], v[10:11], off
	s_waitcnt_vscnt null, 0x0
	global_atomic_cmpswap_x2 v[14:15], v3, v[8:11], s[6:7] offset:24 glc
	s_waitcnt vmcnt(0)
	v_cmp_eq_u64_e32 vcc_lo, v[14:15], v[10:11]
	v_mov_b32_e32 v10, v14
	v_mov_b32_e32 v11, v15
	s_or_b32 s4, vcc_lo, s4
	s_andn2_b32 exec_lo, exec_lo, s4
	s_cbranch_execnz .LBB4_210
	s_branch .LBB4_135
.LBB4_211:
	s_branch .LBB4_263
.LBB4_212:
	s_cbranch_execz .LBB4_106
; %bb.213:
	v_readfirstlane_b32 s4, v28
	s_waitcnt vmcnt(0)
	v_mov_b32_e32 v8, 0
	v_mov_b32_e32 v9, 0
	v_cmp_eq_u32_e64 s4, s4, v28
	s_and_saveexec_b32 s5, s4
	s_cbranch_execz .LBB4_219
; %bb.214:
	v_mov_b32_e32 v2, 0
	s_mov_b32 s8, exec_lo
	global_load_dwordx2 v[5:6], v2, s[6:7] offset:24 glc dlc
	s_waitcnt vmcnt(0)
	buffer_gl1_inv
	buffer_gl0_inv
	s_clause 0x1
	global_load_dwordx2 v[3:4], v2, s[6:7] offset:40
	global_load_dwordx2 v[7:8], v2, s[6:7]
	s_waitcnt vmcnt(1)
	v_and_b32_e32 v4, v4, v6
	v_and_b32_e32 v3, v3, v5
	v_mul_lo_u32 v4, v4, 24
	v_mul_hi_u32 v9, v3, 24
	v_mul_lo_u32 v3, v3, 24
	v_add_nc_u32_e32 v4, v9, v4
	s_waitcnt vmcnt(0)
	v_add_co_u32 v3, vcc_lo, v7, v3
	v_add_co_ci_u32_e32 v4, vcc_lo, v8, v4, vcc_lo
	global_load_dwordx2 v[3:4], v[3:4], off glc dlc
	s_waitcnt vmcnt(0)
	global_atomic_cmpswap_x2 v[8:9], v2, v[3:6], s[6:7] offset:24 glc
	s_waitcnt vmcnt(0)
	buffer_gl1_inv
	buffer_gl0_inv
	v_cmpx_ne_u64_e64 v[8:9], v[5:6]
	s_cbranch_execz .LBB4_218
; %bb.215:
	s_mov_b32 s9, 0
	.p2align	6
.LBB4_216:                              ; =>This Inner Loop Header: Depth=1
	s_sleep 1
	s_clause 0x1
	global_load_dwordx2 v[3:4], v2, s[6:7] offset:40
	global_load_dwordx2 v[10:11], v2, s[6:7]
	v_mov_b32_e32 v5, v8
	v_mov_b32_e32 v6, v9
	s_waitcnt vmcnt(1)
	v_and_b32_e32 v3, v3, v5
	v_and_b32_e32 v4, v4, v6
	s_waitcnt vmcnt(0)
	v_mad_u64_u32 v[7:8], null, v3, 24, v[10:11]
	v_mov_b32_e32 v3, v8
	v_mad_u64_u32 v[3:4], null, v4, 24, v[3:4]
	v_mov_b32_e32 v8, v3
	global_load_dwordx2 v[3:4], v[7:8], off glc dlc
	s_waitcnt vmcnt(0)
	global_atomic_cmpswap_x2 v[8:9], v2, v[3:6], s[6:7] offset:24 glc
	s_waitcnt vmcnt(0)
	buffer_gl1_inv
	buffer_gl0_inv
	v_cmp_eq_u64_e32 vcc_lo, v[8:9], v[5:6]
	s_or_b32 s9, vcc_lo, s9
	s_andn2_b32 exec_lo, exec_lo, s9
	s_cbranch_execnz .LBB4_216
; %bb.217:
	s_or_b32 exec_lo, exec_lo, s9
.LBB4_218:
	s_or_b32 exec_lo, exec_lo, s8
.LBB4_219:
	s_or_b32 exec_lo, exec_lo, s5
	v_mov_b32_e32 v2, 0
	v_readfirstlane_b32 s8, v8
	v_readfirstlane_b32 s9, v9
	s_mov_b32 s5, exec_lo
	s_clause 0x1
	global_load_dwordx2 v[10:11], v2, s[6:7] offset:40
	global_load_dwordx4 v[4:7], v2, s[6:7]
	s_waitcnt vmcnt(1)
	v_readfirstlane_b32 s10, v10
	v_readfirstlane_b32 s11, v11
	s_and_b64 s[10:11], s[8:9], s[10:11]
	s_mul_i32 s12, s11, 24
	s_mul_hi_u32 s13, s10, 24
	s_mul_i32 s14, s10, 24
	s_add_i32 s13, s13, s12
	s_waitcnt vmcnt(0)
	v_add_co_u32 v8, vcc_lo, v4, s14
	v_add_co_ci_u32_e32 v9, vcc_lo, s13, v5, vcc_lo
	s_and_saveexec_b32 s12, s4
	s_cbranch_execz .LBB4_221
; %bb.220:
	v_mov_b32_e32 v10, s5
	v_mov_b32_e32 v11, v2
	;; [unrolled: 1-line block ×4, first 2 shown]
	global_store_dwordx4 v[8:9], v[10:13], off offset:8
.LBB4_221:
	s_or_b32 exec_lo, exec_lo, s12
	s_lshl_b64 s[10:11], s[10:11], 12
	s_mov_b32 s12, 0
	v_add_co_u32 v6, vcc_lo, v6, s10
	v_add_co_ci_u32_e32 v7, vcc_lo, s11, v7, vcc_lo
	s_mov_b32 s13, s12
	s_mov_b32 s14, s12
	;; [unrolled: 1-line block ×3, first 2 shown]
	v_and_or_b32 v0, 0xffffff1d, v0, 34
	v_mov_b32_e32 v3, v2
	v_readfirstlane_b32 s10, v6
	v_readfirstlane_b32 s11, v7
	v_mov_b32_e32 v10, s12
	v_mov_b32_e32 v11, s13
	;; [unrolled: 1-line block ×4, first 2 shown]
	global_store_dwordx4 v29, v[0:3], s[10:11]
	global_store_dwordx4 v29, v[10:13], s[10:11] offset:16
	global_store_dwordx4 v29, v[10:13], s[10:11] offset:32
	global_store_dwordx4 v29, v[10:13], s[10:11] offset:48
	s_and_saveexec_b32 s5, s4
	s_cbranch_execz .LBB4_229
; %bb.222:
	v_mov_b32_e32 v6, 0
	v_mov_b32_e32 v10, s8
	;; [unrolled: 1-line block ×3, first 2 shown]
	s_clause 0x1
	global_load_dwordx2 v[12:13], v6, s[6:7] offset:32 glc dlc
	global_load_dwordx2 v[0:1], v6, s[6:7] offset:40
	s_waitcnt vmcnt(0)
	v_readfirstlane_b32 s10, v0
	v_readfirstlane_b32 s11, v1
	s_and_b64 s[10:11], s[10:11], s[8:9]
	s_mul_i32 s11, s11, 24
	s_mul_hi_u32 s12, s10, 24
	s_mul_i32 s10, s10, 24
	s_add_i32 s12, s12, s11
	v_add_co_u32 v4, vcc_lo, v4, s10
	v_add_co_ci_u32_e32 v5, vcc_lo, s12, v5, vcc_lo
	s_mov_b32 s10, exec_lo
	global_store_dwordx2 v[4:5], v[12:13], off
	s_waitcnt_vscnt null, 0x0
	global_atomic_cmpswap_x2 v[2:3], v6, v[10:13], s[6:7] offset:32 glc
	s_waitcnt vmcnt(0)
	v_cmpx_ne_u64_e64 v[2:3], v[12:13]
	s_cbranch_execz .LBB4_225
; %bb.223:
	s_mov_b32 s11, 0
.LBB4_224:                              ; =>This Inner Loop Header: Depth=1
	v_mov_b32_e32 v0, s8
	v_mov_b32_e32 v1, s9
	s_sleep 1
	global_store_dwordx2 v[4:5], v[2:3], off
	s_waitcnt_vscnt null, 0x0
	global_atomic_cmpswap_x2 v[0:1], v6, v[0:3], s[6:7] offset:32 glc
	s_waitcnt vmcnt(0)
	v_cmp_eq_u64_e32 vcc_lo, v[0:1], v[2:3]
	v_mov_b32_e32 v3, v1
	v_mov_b32_e32 v2, v0
	s_or_b32 s11, vcc_lo, s11
	s_andn2_b32 exec_lo, exec_lo, s11
	s_cbranch_execnz .LBB4_224
.LBB4_225:
	s_or_b32 exec_lo, exec_lo, s10
	v_mov_b32_e32 v3, 0
	s_mov_b32 s11, exec_lo
	s_mov_b32 s10, exec_lo
	v_mbcnt_lo_u32_b32 v2, s11, 0
	global_load_dwordx2 v[0:1], v3, s[6:7] offset:16
	v_cmpx_eq_u32_e32 0, v2
	s_cbranch_execz .LBB4_227
; %bb.226:
	s_bcnt1_i32_b32 s11, s11
	v_mov_b32_e32 v2, s11
	s_waitcnt vmcnt(0)
	global_atomic_add_x2 v[0:1], v[2:3], off offset:8
.LBB4_227:
	s_or_b32 exec_lo, exec_lo, s10
	s_waitcnt vmcnt(0)
	global_load_dwordx2 v[2:3], v[0:1], off offset:16
	s_waitcnt vmcnt(0)
	v_cmp_eq_u64_e32 vcc_lo, 0, v[2:3]
	s_cbranch_vccnz .LBB4_229
; %bb.228:
	global_load_dword v0, v[0:1], off offset:24
	v_mov_b32_e32 v1, 0
	s_waitcnt vmcnt(0)
	v_and_b32_e32 v4, 0x7fffff, v0
	s_waitcnt_vscnt null, 0x0
	global_store_dwordx2 v[2:3], v[0:1], off
	v_readfirstlane_b32 m0, v4
	s_sendmsg sendmsg(MSG_INTERRUPT)
.LBB4_229:
	s_or_b32 exec_lo, exec_lo, s5
	s_branch .LBB4_233
	.p2align	6
.LBB4_230:                              ;   in Loop: Header=BB4_233 Depth=1
	s_or_b32 exec_lo, exec_lo, s5
	v_readfirstlane_b32 s5, v0
	s_cmp_eq_u32 s5, 0
	s_cbranch_scc1 .LBB4_232
; %bb.231:                              ;   in Loop: Header=BB4_233 Depth=1
	s_sleep 1
	s_cbranch_execnz .LBB4_233
	s_branch .LBB4_235
	.p2align	6
.LBB4_232:
	s_branch .LBB4_235
.LBB4_233:                              ; =>This Inner Loop Header: Depth=1
	v_mov_b32_e32 v0, 1
	s_and_saveexec_b32 s5, s4
	s_cbranch_execz .LBB4_230
; %bb.234:                              ;   in Loop: Header=BB4_233 Depth=1
	global_load_dword v0, v[8:9], off offset:20 glc dlc
	s_waitcnt vmcnt(0)
	buffer_gl1_inv
	buffer_gl0_inv
	v_and_b32_e32 v0, 1, v0
	s_branch .LBB4_230
.LBB4_235:
	s_and_saveexec_b32 s5, s4
	s_cbranch_execz .LBB4_239
; %bb.236:
	v_mov_b32_e32 v6, 0
	s_clause 0x2
	global_load_dwordx2 v[2:3], v6, s[6:7] offset:40
	global_load_dwordx2 v[7:8], v6, s[6:7] offset:24 glc dlc
	global_load_dwordx2 v[4:5], v6, s[6:7]
	s_waitcnt vmcnt(2)
	v_add_co_u32 v9, vcc_lo, v2, 1
	v_add_co_ci_u32_e32 v10, vcc_lo, 0, v3, vcc_lo
	v_add_co_u32 v0, vcc_lo, v9, s8
	v_add_co_ci_u32_e32 v1, vcc_lo, s9, v10, vcc_lo
	v_cmp_eq_u64_e32 vcc_lo, 0, v[0:1]
	v_cndmask_b32_e32 v1, v1, v10, vcc_lo
	v_cndmask_b32_e32 v0, v0, v9, vcc_lo
	v_and_b32_e32 v3, v1, v3
	v_and_b32_e32 v2, v0, v2
	v_mul_lo_u32 v3, v3, 24
	v_mul_hi_u32 v9, v2, 24
	v_mul_lo_u32 v2, v2, 24
	v_add_nc_u32_e32 v3, v9, v3
	s_waitcnt vmcnt(0)
	v_add_co_u32 v4, vcc_lo, v4, v2
	v_mov_b32_e32 v2, v7
	v_add_co_ci_u32_e32 v5, vcc_lo, v5, v3, vcc_lo
	v_mov_b32_e32 v3, v8
	global_store_dwordx2 v[4:5], v[7:8], off
	s_waitcnt_vscnt null, 0x0
	global_atomic_cmpswap_x2 v[2:3], v6, v[0:3], s[6:7] offset:24 glc
	s_waitcnt vmcnt(0)
	v_cmp_ne_u64_e32 vcc_lo, v[2:3], v[7:8]
	s_and_b32 exec_lo, exec_lo, vcc_lo
	s_cbranch_execz .LBB4_239
; %bb.237:
	s_mov_b32 s4, 0
.LBB4_238:                              ; =>This Inner Loop Header: Depth=1
	s_sleep 1
	global_store_dwordx2 v[4:5], v[2:3], off
	s_waitcnt_vscnt null, 0x0
	global_atomic_cmpswap_x2 v[7:8], v6, v[0:3], s[6:7] offset:24 glc
	s_waitcnt vmcnt(0)
	v_cmp_eq_u64_e32 vcc_lo, v[7:8], v[2:3]
	v_mov_b32_e32 v2, v7
	v_mov_b32_e32 v3, v8
	s_or_b32 s4, vcc_lo, s4
	s_andn2_b32 exec_lo, exec_lo, s4
	s_cbranch_execnz .LBB4_238
.LBB4_239:
	s_or_b32 exec_lo, exec_lo, s5
                                        ; implicit-def: $vgpr28
	s_andn2_saveexec_b32 s18, s18
	s_cbranch_execnz .LBB4_107
	s_branch .LBB4_263
.LBB4_240:
	s_cbranch_execz .LBB4_263
; %bb.241:
	v_readfirstlane_b32 s4, v28
	s_waitcnt vmcnt(0)
	v_mov_b32_e32 v8, 0
	v_mov_b32_e32 v9, 0
	v_cmp_eq_u32_e64 s4, s4, v28
	s_and_saveexec_b32 s5, s4
	s_cbranch_execz .LBB4_247
; %bb.242:
	v_mov_b32_e32 v2, 0
	s_mov_b32 s8, exec_lo
	global_load_dwordx2 v[5:6], v2, s[6:7] offset:24 glc dlc
	s_waitcnt vmcnt(0)
	buffer_gl1_inv
	buffer_gl0_inv
	s_clause 0x1
	global_load_dwordx2 v[3:4], v2, s[6:7] offset:40
	global_load_dwordx2 v[7:8], v2, s[6:7]
	s_waitcnt vmcnt(1)
	v_and_b32_e32 v4, v4, v6
	v_and_b32_e32 v3, v3, v5
	v_mul_lo_u32 v4, v4, 24
	v_mul_hi_u32 v9, v3, 24
	v_mul_lo_u32 v3, v3, 24
	v_add_nc_u32_e32 v4, v9, v4
	s_waitcnt vmcnt(0)
	v_add_co_u32 v3, vcc_lo, v7, v3
	v_add_co_ci_u32_e32 v4, vcc_lo, v8, v4, vcc_lo
	global_load_dwordx2 v[3:4], v[3:4], off glc dlc
	s_waitcnt vmcnt(0)
	global_atomic_cmpswap_x2 v[8:9], v2, v[3:6], s[6:7] offset:24 glc
	s_waitcnt vmcnt(0)
	buffer_gl1_inv
	buffer_gl0_inv
	v_cmpx_ne_u64_e64 v[8:9], v[5:6]
	s_cbranch_execz .LBB4_246
; %bb.243:
	s_mov_b32 s9, 0
	.p2align	6
.LBB4_244:                              ; =>This Inner Loop Header: Depth=1
	s_sleep 1
	s_clause 0x1
	global_load_dwordx2 v[3:4], v2, s[6:7] offset:40
	global_load_dwordx2 v[10:11], v2, s[6:7]
	v_mov_b32_e32 v5, v8
	v_mov_b32_e32 v6, v9
	s_waitcnt vmcnt(1)
	v_and_b32_e32 v3, v3, v5
	v_and_b32_e32 v4, v4, v6
	s_waitcnt vmcnt(0)
	v_mad_u64_u32 v[7:8], null, v3, 24, v[10:11]
	v_mov_b32_e32 v3, v8
	v_mad_u64_u32 v[3:4], null, v4, 24, v[3:4]
	v_mov_b32_e32 v8, v3
	global_load_dwordx2 v[3:4], v[7:8], off glc dlc
	s_waitcnt vmcnt(0)
	global_atomic_cmpswap_x2 v[8:9], v2, v[3:6], s[6:7] offset:24 glc
	s_waitcnt vmcnt(0)
	buffer_gl1_inv
	buffer_gl0_inv
	v_cmp_eq_u64_e32 vcc_lo, v[8:9], v[5:6]
	s_or_b32 s9, vcc_lo, s9
	s_andn2_b32 exec_lo, exec_lo, s9
	s_cbranch_execnz .LBB4_244
; %bb.245:
	s_or_b32 exec_lo, exec_lo, s9
.LBB4_246:
	s_or_b32 exec_lo, exec_lo, s8
.LBB4_247:
	s_or_b32 exec_lo, exec_lo, s5
	v_mov_b32_e32 v2, 0
	v_readfirstlane_b32 s8, v8
	v_readfirstlane_b32 s9, v9
	s_mov_b32 s5, exec_lo
	s_clause 0x1
	global_load_dwordx2 v[10:11], v2, s[6:7] offset:40
	global_load_dwordx4 v[4:7], v2, s[6:7]
	s_waitcnt vmcnt(1)
	v_readfirstlane_b32 s10, v10
	v_readfirstlane_b32 s11, v11
	s_and_b64 s[10:11], s[8:9], s[10:11]
	s_mul_i32 s12, s11, 24
	s_mul_hi_u32 s13, s10, 24
	s_mul_i32 s14, s10, 24
	s_add_i32 s13, s13, s12
	s_waitcnt vmcnt(0)
	v_add_co_u32 v8, vcc_lo, v4, s14
	v_add_co_ci_u32_e32 v9, vcc_lo, s13, v5, vcc_lo
	s_and_saveexec_b32 s12, s4
	s_cbranch_execz .LBB4_249
; %bb.248:
	v_mov_b32_e32 v10, s5
	v_mov_b32_e32 v11, v2
	;; [unrolled: 1-line block ×4, first 2 shown]
	global_store_dwordx4 v[8:9], v[10:13], off offset:8
.LBB4_249:
	s_or_b32 exec_lo, exec_lo, s12
	s_lshl_b64 s[10:11], s[10:11], 12
	s_mov_b32 s12, 0
	v_add_co_u32 v6, vcc_lo, v6, s10
	v_add_co_ci_u32_e32 v7, vcc_lo, s11, v7, vcc_lo
	s_mov_b32 s13, s12
	s_mov_b32 s14, s12
	;; [unrolled: 1-line block ×3, first 2 shown]
	v_and_or_b32 v0, 0xffffff1d, v0, 34
	v_mov_b32_e32 v3, v2
	v_readfirstlane_b32 s10, v6
	v_readfirstlane_b32 s11, v7
	v_mov_b32_e32 v10, s12
	v_mov_b32_e32 v11, s13
	;; [unrolled: 1-line block ×4, first 2 shown]
	global_store_dwordx4 v29, v[0:3], s[10:11]
	global_store_dwordx4 v29, v[10:13], s[10:11] offset:16
	global_store_dwordx4 v29, v[10:13], s[10:11] offset:32
	;; [unrolled: 1-line block ×3, first 2 shown]
	s_and_saveexec_b32 s5, s4
	s_cbranch_execz .LBB4_257
; %bb.250:
	v_mov_b32_e32 v6, 0
	v_mov_b32_e32 v10, s8
	;; [unrolled: 1-line block ×3, first 2 shown]
	s_clause 0x1
	global_load_dwordx2 v[12:13], v6, s[6:7] offset:32 glc dlc
	global_load_dwordx2 v[0:1], v6, s[6:7] offset:40
	s_waitcnt vmcnt(0)
	v_readfirstlane_b32 s10, v0
	v_readfirstlane_b32 s11, v1
	s_and_b64 s[10:11], s[10:11], s[8:9]
	s_mul_i32 s11, s11, 24
	s_mul_hi_u32 s12, s10, 24
	s_mul_i32 s10, s10, 24
	s_add_i32 s12, s12, s11
	v_add_co_u32 v4, vcc_lo, v4, s10
	v_add_co_ci_u32_e32 v5, vcc_lo, s12, v5, vcc_lo
	s_mov_b32 s10, exec_lo
	global_store_dwordx2 v[4:5], v[12:13], off
	s_waitcnt_vscnt null, 0x0
	global_atomic_cmpswap_x2 v[2:3], v6, v[10:13], s[6:7] offset:32 glc
	s_waitcnt vmcnt(0)
	v_cmpx_ne_u64_e64 v[2:3], v[12:13]
	s_cbranch_execz .LBB4_253
; %bb.251:
	s_mov_b32 s11, 0
.LBB4_252:                              ; =>This Inner Loop Header: Depth=1
	v_mov_b32_e32 v0, s8
	v_mov_b32_e32 v1, s9
	s_sleep 1
	global_store_dwordx2 v[4:5], v[2:3], off
	s_waitcnt_vscnt null, 0x0
	global_atomic_cmpswap_x2 v[0:1], v6, v[0:3], s[6:7] offset:32 glc
	s_waitcnt vmcnt(0)
	v_cmp_eq_u64_e32 vcc_lo, v[0:1], v[2:3]
	v_mov_b32_e32 v3, v1
	v_mov_b32_e32 v2, v0
	s_or_b32 s11, vcc_lo, s11
	s_andn2_b32 exec_lo, exec_lo, s11
	s_cbranch_execnz .LBB4_252
.LBB4_253:
	s_or_b32 exec_lo, exec_lo, s10
	v_mov_b32_e32 v3, 0
	s_mov_b32 s11, exec_lo
	s_mov_b32 s10, exec_lo
	v_mbcnt_lo_u32_b32 v2, s11, 0
	global_load_dwordx2 v[0:1], v3, s[6:7] offset:16
	v_cmpx_eq_u32_e32 0, v2
	s_cbranch_execz .LBB4_255
; %bb.254:
	s_bcnt1_i32_b32 s11, s11
	v_mov_b32_e32 v2, s11
	s_waitcnt vmcnt(0)
	global_atomic_add_x2 v[0:1], v[2:3], off offset:8
.LBB4_255:
	s_or_b32 exec_lo, exec_lo, s10
	s_waitcnt vmcnt(0)
	global_load_dwordx2 v[2:3], v[0:1], off offset:16
	s_waitcnt vmcnt(0)
	v_cmp_eq_u64_e32 vcc_lo, 0, v[2:3]
	s_cbranch_vccnz .LBB4_257
; %bb.256:
	global_load_dword v0, v[0:1], off offset:24
	v_mov_b32_e32 v1, 0
	s_waitcnt vmcnt(0)
	v_and_b32_e32 v4, 0x7fffff, v0
	s_waitcnt_vscnt null, 0x0
	global_store_dwordx2 v[2:3], v[0:1], off
	v_readfirstlane_b32 m0, v4
	s_sendmsg sendmsg(MSG_INTERRUPT)
.LBB4_257:
	s_or_b32 exec_lo, exec_lo, s5
	s_branch .LBB4_261
	.p2align	6
.LBB4_258:                              ;   in Loop: Header=BB4_261 Depth=1
	s_or_b32 exec_lo, exec_lo, s5
	v_readfirstlane_b32 s5, v0
	s_cmp_eq_u32 s5, 0
	s_cbranch_scc1 .LBB4_260
; %bb.259:                              ;   in Loop: Header=BB4_261 Depth=1
	s_sleep 1
	s_cbranch_execnz .LBB4_261
	s_branch .LBB4_264
	.p2align	6
.LBB4_260:
	s_branch .LBB4_264
.LBB4_261:                              ; =>This Inner Loop Header: Depth=1
	v_mov_b32_e32 v0, 1
	s_and_saveexec_b32 s5, s4
	s_cbranch_execz .LBB4_258
; %bb.262:                              ;   in Loop: Header=BB4_261 Depth=1
	global_load_dword v0, v[8:9], off offset:20 glc dlc
	s_waitcnt vmcnt(0)
	buffer_gl1_inv
	buffer_gl0_inv
	v_and_b32_e32 v0, 1, v0
	s_branch .LBB4_258
.LBB4_263:
	s_or_b32 exec_lo, exec_lo, s18
	s_waitcnt vmcnt(0) lgkmcnt(0)
	s_setpc_b64 s[30:31]
.LBB4_264:
	s_and_saveexec_b32 s5, s4
	s_cbranch_execz .LBB4_268
; %bb.265:
	v_mov_b32_e32 v6, 0
	s_clause 0x2
	global_load_dwordx2 v[2:3], v6, s[6:7] offset:40
	global_load_dwordx2 v[7:8], v6, s[6:7] offset:24 glc dlc
	global_load_dwordx2 v[4:5], v6, s[6:7]
	s_waitcnt vmcnt(2)
	v_add_co_u32 v9, vcc_lo, v2, 1
	v_add_co_ci_u32_e32 v10, vcc_lo, 0, v3, vcc_lo
	v_add_co_u32 v0, vcc_lo, v9, s8
	v_add_co_ci_u32_e32 v1, vcc_lo, s9, v10, vcc_lo
	v_cmp_eq_u64_e32 vcc_lo, 0, v[0:1]
	v_cndmask_b32_e32 v1, v1, v10, vcc_lo
	v_cndmask_b32_e32 v0, v0, v9, vcc_lo
	v_and_b32_e32 v3, v1, v3
	v_and_b32_e32 v2, v0, v2
	v_mul_lo_u32 v3, v3, 24
	v_mul_hi_u32 v9, v2, 24
	v_mul_lo_u32 v2, v2, 24
	v_add_nc_u32_e32 v3, v9, v3
	s_waitcnt vmcnt(0)
	v_add_co_u32 v4, vcc_lo, v4, v2
	v_mov_b32_e32 v2, v7
	v_add_co_ci_u32_e32 v5, vcc_lo, v5, v3, vcc_lo
	v_mov_b32_e32 v3, v8
	global_store_dwordx2 v[4:5], v[7:8], off
	s_waitcnt_vscnt null, 0x0
	global_atomic_cmpswap_x2 v[2:3], v6, v[0:3], s[6:7] offset:24 glc
	s_waitcnt vmcnt(0)
	v_cmp_ne_u64_e32 vcc_lo, v[2:3], v[7:8]
	s_and_b32 exec_lo, exec_lo, vcc_lo
	s_cbranch_execz .LBB4_268
; %bb.266:
	s_mov_b32 s4, 0
.LBB4_267:                              ; =>This Inner Loop Header: Depth=1
	s_sleep 1
	global_store_dwordx2 v[4:5], v[2:3], off
	s_waitcnt_vscnt null, 0x0
	global_atomic_cmpswap_x2 v[7:8], v6, v[0:3], s[6:7] offset:24 glc
	s_waitcnt vmcnt(0)
	v_cmp_eq_u64_e32 vcc_lo, v[7:8], v[2:3]
	v_mov_b32_e32 v2, v7
	v_mov_b32_e32 v3, v8
	s_or_b32 s4, vcc_lo, s4
	s_andn2_b32 exec_lo, exec_lo, s4
	s_cbranch_execnz .LBB4_267
.LBB4_268:
	s_or_b32 exec_lo, exec_lo, s5
	s_or_b32 exec_lo, exec_lo, s18
	s_waitcnt lgkmcnt(0)
	s_setpc_b64 s[30:31]
.Lfunc_end4:
	.size	_ZN8migraphx4testlsIKNS_13basic_printerIZNS_4coutEvEUlT_E_EEEERS3_S7_RKNS0_14lhs_expressionIbNS0_3nopEEE, .Lfunc_end4-_ZN8migraphx4testlsIKNS_13basic_printerIZNS_4coutEvEUlT_E_EEEERS3_S7_RKNS0_14lhs_expressionIbNS0_3nopEEE
                                        ; -- End function
	.section	.AMDGPU.csdata,"",@progbits
; Function info:
; codeLenInByte = 9464
; NumSgprs: 34
; NumVgprs: 32
; ScratchSize: 0
; MemoryBound: 0
	.text
	.p2align	2                               ; -- Begin function _ZN8migraphx4test12test_manager6failedINS0_14lhs_expressionIbNS0_3nopEEEPFvvEEEvRKT_PKcSC_SC_iT0_
	.type	_ZN8migraphx4test12test_manager6failedINS0_14lhs_expressionIbNS0_3nopEEEPFvvEEEvRKT_PKcSC_SC_iT0_,@function
_ZN8migraphx4test12test_manager6failedINS0_14lhs_expressionIbNS0_3nopEEEPFvvEEEvRKT_PKcSC_SC_iT0_: ; @_ZN8migraphx4test12test_manager6failedINS0_14lhs_expressionIbNS0_3nopEEEPFvvEEEvRKT_PKcSC_SC_iT0_
; %bb.0:
	s_waitcnt vmcnt(0) expcnt(0) lgkmcnt(0)
	s_mov_b32 s4, s33
	s_mov_b32 s33, s32
	s_or_saveexec_b32 s5, -1
	buffer_store_dword v40, off, s[0:3], s33 ; 4-byte Folded Spill
	s_mov_b32 exec_lo, s5
	v_writelane_b32 v40, s4, 2
	v_writelane_b32 v40, s30, 0
	s_addk_i32 s32, 0x200
	v_writelane_b32 v40, s31, 1
	v_mov_b32_e32 v39, v3
	v_mov_b32_e32 v38, v2
	v_mov_b32_e32 v36, v0
	v_mov_b32_e32 v37, v1
	flat_load_ubyte v0, v[38:39]
	s_waitcnt vmcnt(0) lgkmcnt(0)
	v_and_b32_e32 v0, 1, v0
	v_cmp_eq_u32_e32 vcc_lo, 1, v0
	s_xor_b32 s4, vcc_lo, -1
	s_and_saveexec_b32 s28, s4
	s_cbranch_execz .LBB5_1679
; %bb.1:
	v_and_b32_e32 v0, 0x3ff, v31
	s_mov_b32 s29, exec_lo
	v_cmpx_eq_u32_e32 0, v0
	s_cbranch_execz .LBB5_1678
; %bb.2:
	s_load_dwordx2 s[26:27], s[8:9], 0x50
	v_mbcnt_lo_u32_b32 v49, -1, 0
	v_mov_b32_e32 v9, 0
	v_mov_b32_e32 v10, 0
	v_readfirstlane_b32 s4, v49
	v_cmp_eq_u32_e64 s4, s4, v49
	s_and_saveexec_b32 s5, s4
	s_cbranch_execz .LBB5_8
; %bb.3:
	v_mov_b32_e32 v0, 0
	s_mov_b32 s6, exec_lo
	s_waitcnt lgkmcnt(0)
	global_load_dwordx2 v[11:12], v0, s[26:27] offset:24 glc dlc
	s_waitcnt vmcnt(0)
	buffer_gl1_inv
	buffer_gl0_inv
	s_clause 0x1
	global_load_dwordx2 v[1:2], v0, s[26:27] offset:40
	global_load_dwordx2 v[7:8], v0, s[26:27]
	s_waitcnt vmcnt(1)
	v_and_b32_e32 v2, v2, v12
	v_and_b32_e32 v1, v1, v11
	v_mul_lo_u32 v2, v2, 24
	v_mul_hi_u32 v3, v1, 24
	v_mul_lo_u32 v1, v1, 24
	v_add_nc_u32_e32 v2, v3, v2
	s_waitcnt vmcnt(0)
	v_add_co_u32 v1, vcc_lo, v7, v1
	v_add_co_ci_u32_e32 v2, vcc_lo, v8, v2, vcc_lo
	global_load_dwordx2 v[9:10], v[1:2], off glc dlc
	s_waitcnt vmcnt(0)
	global_atomic_cmpswap_x2 v[9:10], v0, v[9:12], s[26:27] offset:24 glc
	s_waitcnt vmcnt(0)
	buffer_gl1_inv
	buffer_gl0_inv
	v_cmpx_ne_u64_e64 v[9:10], v[11:12]
	s_cbranch_execz .LBB5_7
; %bb.4:
	s_mov_b32 s7, 0
	.p2align	6
.LBB5_5:                                ; =>This Inner Loop Header: Depth=1
	s_sleep 1
	s_clause 0x1
	global_load_dwordx2 v[1:2], v0, s[26:27] offset:40
	global_load_dwordx2 v[7:8], v0, s[26:27]
	v_mov_b32_e32 v12, v10
	v_mov_b32_e32 v11, v9
	s_waitcnt vmcnt(1)
	v_and_b32_e32 v1, v1, v11
	v_and_b32_e32 v2, v2, v12
	s_waitcnt vmcnt(0)
	v_mad_u64_u32 v[7:8], null, v1, 24, v[7:8]
	v_mov_b32_e32 v1, v8
	v_mad_u64_u32 v[1:2], null, v2, 24, v[1:2]
	v_mov_b32_e32 v8, v1
	global_load_dwordx2 v[9:10], v[7:8], off glc dlc
	s_waitcnt vmcnt(0)
	global_atomic_cmpswap_x2 v[9:10], v0, v[9:12], s[26:27] offset:24 glc
	s_waitcnt vmcnt(0)
	buffer_gl1_inv
	buffer_gl0_inv
	v_cmp_eq_u64_e32 vcc_lo, v[9:10], v[11:12]
	s_or_b32 s7, vcc_lo, s7
	s_andn2_b32 exec_lo, exec_lo, s7
	s_cbranch_execnz .LBB5_5
; %bb.6:
	s_or_b32 exec_lo, exec_lo, s7
.LBB5_7:
	s_or_b32 exec_lo, exec_lo, s6
.LBB5_8:
	s_or_b32 exec_lo, exec_lo, s5
	v_mov_b32_e32 v8, 0
	v_readfirstlane_b32 s6, v9
	v_readfirstlane_b32 s7, v10
	s_mov_b32 s5, exec_lo
	s_waitcnt lgkmcnt(0)
	s_clause 0x1
	global_load_dwordx2 v[11:12], v8, s[26:27] offset:40
	global_load_dwordx4 v[0:3], v8, s[26:27]
	s_waitcnt vmcnt(1)
	v_readfirstlane_b32 s10, v11
	v_readfirstlane_b32 s11, v12
	s_and_b64 s[10:11], s[6:7], s[10:11]
	s_mul_i32 s15, s11, 24
	s_mul_hi_u32 s16, s10, 24
	s_mul_i32 s17, s10, 24
	s_add_i32 s16, s16, s15
	s_waitcnt vmcnt(0)
	v_add_co_u32 v11, vcc_lo, v0, s17
	v_add_co_ci_u32_e32 v12, vcc_lo, s16, v1, vcc_lo
	s_and_saveexec_b32 s15, s4
	s_cbranch_execz .LBB5_10
; %bb.9:
	v_mov_b32_e32 v7, s5
	v_mov_b32_e32 v9, 2
	;; [unrolled: 1-line block ×3, first 2 shown]
	global_store_dwordx4 v[11:12], v[7:10], off offset:8
.LBB5_10:
	s_or_b32 exec_lo, exec_lo, s15
	s_lshl_b64 s[10:11], s[10:11], 12
	v_lshlrev_b32_e32 v48, 6, v49
	v_add_co_u32 v2, vcc_lo, v2, s10
	v_add_co_ci_u32_e32 v3, vcc_lo, s11, v3, vcc_lo
	s_mov_b32 s16, 0
	v_add_co_u32 v13, vcc_lo, v2, v48
	s_mov_b32 s17, s16
	s_mov_b32 s18, s16
	s_mov_b32 s19, s16
	v_mov_b32_e32 v7, 33
	v_mov_b32_e32 v9, v8
	;; [unrolled: 1-line block ×3, first 2 shown]
	v_readfirstlane_b32 s10, v2
	v_readfirstlane_b32 s11, v3
	v_mov_b32_e32 v15, s16
	v_add_co_ci_u32_e32 v14, vcc_lo, 0, v3, vcc_lo
	v_mov_b32_e32 v16, s17
	v_mov_b32_e32 v17, s18
	;; [unrolled: 1-line block ×3, first 2 shown]
	global_store_dwordx4 v48, v[7:10], s[10:11]
	global_store_dwordx4 v48, v[15:18], s[10:11] offset:16
	global_store_dwordx4 v48, v[15:18], s[10:11] offset:32
	;; [unrolled: 1-line block ×3, first 2 shown]
	s_and_saveexec_b32 s5, s4
	s_cbranch_execz .LBB5_18
; %bb.11:
	v_mov_b32_e32 v9, 0
	v_mov_b32_e32 v15, s6
	;; [unrolled: 1-line block ×3, first 2 shown]
	s_mov_b32 s10, exec_lo
	s_clause 0x1
	global_load_dwordx2 v[17:18], v9, s[26:27] offset:32 glc dlc
	global_load_dwordx2 v[2:3], v9, s[26:27] offset:40
	s_waitcnt vmcnt(0)
	v_and_b32_e32 v3, s7, v3
	v_and_b32_e32 v2, s6, v2
	v_mul_lo_u32 v3, v3, 24
	v_mul_hi_u32 v7, v2, 24
	v_mul_lo_u32 v2, v2, 24
	v_add_nc_u32_e32 v3, v7, v3
	v_add_co_u32 v7, vcc_lo, v0, v2
	v_add_co_ci_u32_e32 v8, vcc_lo, v1, v3, vcc_lo
	global_store_dwordx2 v[7:8], v[17:18], off
	s_waitcnt_vscnt null, 0x0
	global_atomic_cmpswap_x2 v[2:3], v9, v[15:18], s[26:27] offset:32 glc
	s_waitcnt vmcnt(0)
	v_cmpx_ne_u64_e64 v[2:3], v[17:18]
	s_cbranch_execz .LBB5_14
; %bb.12:
	s_mov_b32 s11, 0
.LBB5_13:                               ; =>This Inner Loop Header: Depth=1
	v_mov_b32_e32 v0, s6
	v_mov_b32_e32 v1, s7
	s_sleep 1
	global_store_dwordx2 v[7:8], v[2:3], off
	s_waitcnt_vscnt null, 0x0
	global_atomic_cmpswap_x2 v[0:1], v9, v[0:3], s[26:27] offset:32 glc
	s_waitcnt vmcnt(0)
	v_cmp_eq_u64_e32 vcc_lo, v[0:1], v[2:3]
	v_mov_b32_e32 v3, v1
	v_mov_b32_e32 v2, v0
	s_or_b32 s11, vcc_lo, s11
	s_andn2_b32 exec_lo, exec_lo, s11
	s_cbranch_execnz .LBB5_13
.LBB5_14:
	s_or_b32 exec_lo, exec_lo, s10
	v_mov_b32_e32 v3, 0
	s_mov_b32 s11, exec_lo
	s_mov_b32 s10, exec_lo
	v_mbcnt_lo_u32_b32 v2, s11, 0
	global_load_dwordx2 v[0:1], v3, s[26:27] offset:16
	v_cmpx_eq_u32_e32 0, v2
	s_cbranch_execz .LBB5_16
; %bb.15:
	s_bcnt1_i32_b32 s11, s11
	v_mov_b32_e32 v2, s11
	s_waitcnt vmcnt(0)
	global_atomic_add_x2 v[0:1], v[2:3], off offset:8
.LBB5_16:
	s_or_b32 exec_lo, exec_lo, s10
	s_waitcnt vmcnt(0)
	global_load_dwordx2 v[2:3], v[0:1], off offset:16
	s_waitcnt vmcnt(0)
	v_cmp_eq_u64_e32 vcc_lo, 0, v[2:3]
	s_cbranch_vccnz .LBB5_18
; %bb.17:
	global_load_dword v0, v[0:1], off offset:24
	v_mov_b32_e32 v1, 0
	s_waitcnt vmcnt(0)
	v_and_b32_e32 v7, 0x7fffff, v0
	s_waitcnt_vscnt null, 0x0
	global_store_dwordx2 v[2:3], v[0:1], off
	v_readfirstlane_b32 m0, v7
	s_sendmsg sendmsg(MSG_INTERRUPT)
.LBB5_18:
	s_or_b32 exec_lo, exec_lo, s5
	s_branch .LBB5_22
	.p2align	6
.LBB5_19:                               ;   in Loop: Header=BB5_22 Depth=1
	s_or_b32 exec_lo, exec_lo, s5
	v_readfirstlane_b32 s5, v0
	s_cmp_eq_u32 s5, 0
	s_cbranch_scc1 .LBB5_21
; %bb.20:                               ;   in Loop: Header=BB5_22 Depth=1
	s_sleep 1
	s_cbranch_execnz .LBB5_22
	s_branch .LBB5_24
	.p2align	6
.LBB5_21:
	s_branch .LBB5_24
.LBB5_22:                               ; =>This Inner Loop Header: Depth=1
	v_mov_b32_e32 v0, 1
	s_and_saveexec_b32 s5, s4
	s_cbranch_execz .LBB5_19
; %bb.23:                               ;   in Loop: Header=BB5_22 Depth=1
	global_load_dword v0, v[11:12], off offset:20 glc dlc
	s_waitcnt vmcnt(0)
	buffer_gl1_inv
	buffer_gl0_inv
	v_and_b32_e32 v0, 1, v0
	s_branch .LBB5_19
.LBB5_24:
	global_load_dwordx2 v[7:8], v[13:14], off
	s_and_saveexec_b32 s5, s4
	s_cbranch_execz .LBB5_28
; %bb.25:
	v_mov_b32_e32 v11, 0
	s_clause 0x2
	global_load_dwordx2 v[2:3], v11, s[26:27] offset:40
	global_load_dwordx2 v[12:13], v11, s[26:27] offset:24 glc dlc
	global_load_dwordx2 v[9:10], v11, s[26:27]
	s_waitcnt vmcnt(2)
	v_add_co_u32 v14, vcc_lo, v2, 1
	v_add_co_ci_u32_e32 v15, vcc_lo, 0, v3, vcc_lo
	v_add_co_u32 v0, vcc_lo, v14, s6
	v_add_co_ci_u32_e32 v1, vcc_lo, s7, v15, vcc_lo
	v_cmp_eq_u64_e32 vcc_lo, 0, v[0:1]
	v_cndmask_b32_e32 v1, v1, v15, vcc_lo
	v_cndmask_b32_e32 v0, v0, v14, vcc_lo
	v_and_b32_e32 v3, v1, v3
	v_and_b32_e32 v2, v0, v2
	v_mul_lo_u32 v3, v3, 24
	v_mul_hi_u32 v14, v2, 24
	v_mul_lo_u32 v2, v2, 24
	v_add_nc_u32_e32 v3, v14, v3
	s_waitcnt vmcnt(0)
	v_add_co_u32 v9, vcc_lo, v9, v2
	v_mov_b32_e32 v2, v12
	v_add_co_ci_u32_e32 v10, vcc_lo, v10, v3, vcc_lo
	v_mov_b32_e32 v3, v13
	global_store_dwordx2 v[9:10], v[12:13], off
	s_waitcnt_vscnt null, 0x0
	global_atomic_cmpswap_x2 v[2:3], v11, v[0:3], s[26:27] offset:24 glc
	s_waitcnt vmcnt(0)
	v_cmp_ne_u64_e32 vcc_lo, v[2:3], v[12:13]
	s_and_b32 exec_lo, exec_lo, vcc_lo
	s_cbranch_execz .LBB5_28
; %bb.26:
	s_mov_b32 s4, 0
.LBB5_27:                               ; =>This Inner Loop Header: Depth=1
	s_sleep 1
	global_store_dwordx2 v[9:10], v[2:3], off
	s_waitcnt_vscnt null, 0x0
	global_atomic_cmpswap_x2 v[12:13], v11, v[0:3], s[26:27] offset:24 glc
	s_waitcnt vmcnt(0)
	v_cmp_eq_u64_e32 vcc_lo, v[12:13], v[2:3]
	v_mov_b32_e32 v2, v12
	v_mov_b32_e32 v3, v13
	s_or_b32 s4, vcc_lo, s4
	s_andn2_b32 exec_lo, exec_lo, s4
	s_cbranch_execnz .LBB5_27
.LBB5_28:
	s_or_b32 exec_lo, exec_lo, s5
	s_getpc_b64 s[6:7]
	s_add_u32 s6, s6, .str.8@rel32@lo+4
	s_addc_u32 s7, s7, .str.8@rel32@hi+12
	s_cmp_lg_u64 s[6:7], 0
	s_cselect_b32 s15, -1, 0
	s_and_b32 vcc_lo, exec_lo, s15
	s_cbranch_vccz .LBB5_107
; %bb.29:
	s_waitcnt vmcnt(0)
	v_and_b32_e32 v31, 2, v7
	v_mov_b32_e32 v10, 0
	v_and_b32_e32 v0, -3, v7
	v_mov_b32_e32 v1, v8
	v_mov_b32_e32 v11, 2
	;; [unrolled: 1-line block ×3, first 2 shown]
	s_mov_b64 s[10:11], 3
	s_branch .LBB5_31
.LBB5_30:                               ;   in Loop: Header=BB5_31 Depth=1
	s_or_b32 exec_lo, exec_lo, s5
	s_sub_u32 s10, s10, s16
	s_subb_u32 s11, s11, s17
	s_add_u32 s6, s6, s16
	s_addc_u32 s7, s7, s17
	s_cmp_lg_u64 s[10:11], 0
	s_cbranch_scc0 .LBB5_106
.LBB5_31:                               ; =>This Loop Header: Depth=1
                                        ;     Child Loop BB5_40 Depth 2
                                        ;     Child Loop BB5_36 Depth 2
	;; [unrolled: 1-line block ×11, first 2 shown]
	v_cmp_lt_u64_e64 s4, s[10:11], 56
	v_cmp_gt_u64_e64 s5, s[10:11], 7
                                        ; implicit-def: $vgpr2_vgpr3
                                        ; implicit-def: $sgpr22
	s_and_b32 s4, s4, exec_lo
	s_cselect_b32 s17, s11, 0
	s_cselect_b32 s16, s10, 56
	s_and_b32 vcc_lo, exec_lo, s5
	s_mov_b32 s4, -1
	s_cbranch_vccz .LBB5_38
; %bb.32:                               ;   in Loop: Header=BB5_31 Depth=1
	s_andn2_b32 vcc_lo, exec_lo, s4
	s_mov_b64 s[4:5], s[6:7]
	s_cbranch_vccz .LBB5_42
.LBB5_33:                               ;   in Loop: Header=BB5_31 Depth=1
	s_cmp_gt_u32 s22, 7
	s_cbranch_scc1 .LBB5_43
.LBB5_34:                               ;   in Loop: Header=BB5_31 Depth=1
	v_mov_b32_e32 v13, 0
	v_mov_b32_e32 v14, 0
	s_cmp_eq_u32 s22, 0
	s_cbranch_scc1 .LBB5_37
; %bb.35:                               ;   in Loop: Header=BB5_31 Depth=1
	s_mov_b64 s[18:19], 0
	s_mov_b64 s[20:21], 0
.LBB5_36:                               ;   Parent Loop BB5_31 Depth=1
                                        ; =>  This Inner Loop Header: Depth=2
	s_add_u32 s24, s4, s20
	s_addc_u32 s25, s5, s21
	s_add_u32 s20, s20, 1
	global_load_ubyte v9, v10, s[24:25]
	s_addc_u32 s21, s21, 0
	s_waitcnt vmcnt(0)
	v_and_b32_e32 v9, 0xffff, v9
	v_lshlrev_b64 v[15:16], s18, v[9:10]
	s_add_u32 s18, s18, 8
	s_addc_u32 s19, s19, 0
	s_cmp_lg_u32 s22, s20
	v_or_b32_e32 v13, v15, v13
	v_or_b32_e32 v14, v16, v14
	s_cbranch_scc1 .LBB5_36
.LBB5_37:                               ;   in Loop: Header=BB5_31 Depth=1
	s_mov_b32 s23, 0
	s_cbranch_execz .LBB5_44
	s_branch .LBB5_45
.LBB5_38:                               ;   in Loop: Header=BB5_31 Depth=1
	s_waitcnt vmcnt(0)
	v_mov_b32_e32 v2, 0
	v_mov_b32_e32 v3, 0
	s_cmp_eq_u64 s[10:11], 0
	s_mov_b64 s[4:5], 0
	s_cbranch_scc1 .LBB5_41
; %bb.39:                               ;   in Loop: Header=BB5_31 Depth=1
	v_mov_b32_e32 v2, 0
	v_mov_b32_e32 v3, 0
	s_lshl_b64 s[18:19], s[16:17], 3
	s_mov_b64 s[20:21], s[6:7]
.LBB5_40:                               ;   Parent Loop BB5_31 Depth=1
                                        ; =>  This Inner Loop Header: Depth=2
	global_load_ubyte v9, v10, s[20:21]
	s_waitcnt vmcnt(0)
	v_and_b32_e32 v9, 0xffff, v9
	v_lshlrev_b64 v[13:14], s4, v[9:10]
	s_add_u32 s4, s4, 8
	s_addc_u32 s5, s5, 0
	s_add_u32 s20, s20, 1
	s_addc_u32 s21, s21, 0
	s_cmp_lg_u32 s18, s4
	v_or_b32_e32 v2, v13, v2
	v_or_b32_e32 v3, v14, v3
	s_cbranch_scc1 .LBB5_40
.LBB5_41:                               ;   in Loop: Header=BB5_31 Depth=1
	s_mov_b32 s22, 0
	s_mov_b64 s[4:5], s[6:7]
	s_cbranch_execnz .LBB5_33
.LBB5_42:                               ;   in Loop: Header=BB5_31 Depth=1
	global_load_dwordx2 v[2:3], v10, s[6:7]
	s_add_i32 s22, s16, -8
	s_add_u32 s4, s6, 8
	s_addc_u32 s5, s7, 0
	s_cmp_gt_u32 s22, 7
	s_cbranch_scc0 .LBB5_34
.LBB5_43:                               ;   in Loop: Header=BB5_31 Depth=1
                                        ; implicit-def: $vgpr13_vgpr14
                                        ; implicit-def: $sgpr23
.LBB5_44:                               ;   in Loop: Header=BB5_31 Depth=1
	global_load_dwordx2 v[13:14], v10, s[4:5]
	s_add_i32 s23, s22, -8
	s_add_u32 s4, s4, 8
	s_addc_u32 s5, s5, 0
.LBB5_45:                               ;   in Loop: Header=BB5_31 Depth=1
	s_cmp_gt_u32 s23, 7
	s_cbranch_scc1 .LBB5_50
; %bb.46:                               ;   in Loop: Header=BB5_31 Depth=1
	v_mov_b32_e32 v15, 0
	v_mov_b32_e32 v16, 0
	s_cmp_eq_u32 s23, 0
	s_cbranch_scc1 .LBB5_49
; %bb.47:                               ;   in Loop: Header=BB5_31 Depth=1
	s_mov_b64 s[18:19], 0
	s_mov_b64 s[20:21], 0
.LBB5_48:                               ;   Parent Loop BB5_31 Depth=1
                                        ; =>  This Inner Loop Header: Depth=2
	s_add_u32 s24, s4, s20
	s_addc_u32 s25, s5, s21
	s_add_u32 s20, s20, 1
	global_load_ubyte v9, v10, s[24:25]
	s_addc_u32 s21, s21, 0
	s_waitcnt vmcnt(0)
	v_and_b32_e32 v9, 0xffff, v9
	v_lshlrev_b64 v[17:18], s18, v[9:10]
	s_add_u32 s18, s18, 8
	s_addc_u32 s19, s19, 0
	s_cmp_lg_u32 s23, s20
	v_or_b32_e32 v15, v17, v15
	v_or_b32_e32 v16, v18, v16
	s_cbranch_scc1 .LBB5_48
.LBB5_49:                               ;   in Loop: Header=BB5_31 Depth=1
	s_mov_b32 s22, 0
	s_cbranch_execz .LBB5_51
	s_branch .LBB5_52
.LBB5_50:                               ;   in Loop: Header=BB5_31 Depth=1
                                        ; implicit-def: $sgpr22
.LBB5_51:                               ;   in Loop: Header=BB5_31 Depth=1
	global_load_dwordx2 v[15:16], v10, s[4:5]
	s_add_i32 s22, s23, -8
	s_add_u32 s4, s4, 8
	s_addc_u32 s5, s5, 0
.LBB5_52:                               ;   in Loop: Header=BB5_31 Depth=1
	s_cmp_gt_u32 s22, 7
	s_cbranch_scc1 .LBB5_57
; %bb.53:                               ;   in Loop: Header=BB5_31 Depth=1
	v_mov_b32_e32 v17, 0
	v_mov_b32_e32 v18, 0
	s_cmp_eq_u32 s22, 0
	s_cbranch_scc1 .LBB5_56
; %bb.54:                               ;   in Loop: Header=BB5_31 Depth=1
	s_mov_b64 s[18:19], 0
	s_mov_b64 s[20:21], 0
.LBB5_55:                               ;   Parent Loop BB5_31 Depth=1
                                        ; =>  This Inner Loop Header: Depth=2
	s_add_u32 s24, s4, s20
	s_addc_u32 s25, s5, s21
	s_add_u32 s20, s20, 1
	global_load_ubyte v9, v10, s[24:25]
	s_addc_u32 s21, s21, 0
	s_waitcnt vmcnt(0)
	v_and_b32_e32 v9, 0xffff, v9
	v_lshlrev_b64 v[19:20], s18, v[9:10]
	s_add_u32 s18, s18, 8
	s_addc_u32 s19, s19, 0
	s_cmp_lg_u32 s22, s20
	v_or_b32_e32 v17, v19, v17
	v_or_b32_e32 v18, v20, v18
	s_cbranch_scc1 .LBB5_55
.LBB5_56:                               ;   in Loop: Header=BB5_31 Depth=1
	s_mov_b32 s23, 0
	s_cbranch_execz .LBB5_58
	s_branch .LBB5_59
.LBB5_57:                               ;   in Loop: Header=BB5_31 Depth=1
                                        ; implicit-def: $vgpr17_vgpr18
                                        ; implicit-def: $sgpr23
.LBB5_58:                               ;   in Loop: Header=BB5_31 Depth=1
	global_load_dwordx2 v[17:18], v10, s[4:5]
	s_add_i32 s23, s22, -8
	s_add_u32 s4, s4, 8
	s_addc_u32 s5, s5, 0
.LBB5_59:                               ;   in Loop: Header=BB5_31 Depth=1
	s_cmp_gt_u32 s23, 7
	s_cbranch_scc1 .LBB5_64
; %bb.60:                               ;   in Loop: Header=BB5_31 Depth=1
	v_mov_b32_e32 v19, 0
	v_mov_b32_e32 v20, 0
	s_cmp_eq_u32 s23, 0
	s_cbranch_scc1 .LBB5_63
; %bb.61:                               ;   in Loop: Header=BB5_31 Depth=1
	s_mov_b64 s[18:19], 0
	s_mov_b64 s[20:21], 0
.LBB5_62:                               ;   Parent Loop BB5_31 Depth=1
                                        ; =>  This Inner Loop Header: Depth=2
	s_add_u32 s24, s4, s20
	s_addc_u32 s25, s5, s21
	s_add_u32 s20, s20, 1
	global_load_ubyte v9, v10, s[24:25]
	s_addc_u32 s21, s21, 0
	s_waitcnt vmcnt(0)
	v_and_b32_e32 v9, 0xffff, v9
	v_lshlrev_b64 v[21:22], s18, v[9:10]
	s_add_u32 s18, s18, 8
	s_addc_u32 s19, s19, 0
	s_cmp_lg_u32 s23, s20
	v_or_b32_e32 v19, v21, v19
	v_or_b32_e32 v20, v22, v20
	s_cbranch_scc1 .LBB5_62
.LBB5_63:                               ;   in Loop: Header=BB5_31 Depth=1
	s_mov_b32 s22, 0
	s_cbranch_execz .LBB5_65
	s_branch .LBB5_66
.LBB5_64:                               ;   in Loop: Header=BB5_31 Depth=1
                                        ; implicit-def: $sgpr22
.LBB5_65:                               ;   in Loop: Header=BB5_31 Depth=1
	global_load_dwordx2 v[19:20], v10, s[4:5]
	s_add_i32 s22, s23, -8
	s_add_u32 s4, s4, 8
	s_addc_u32 s5, s5, 0
.LBB5_66:                               ;   in Loop: Header=BB5_31 Depth=1
	s_cmp_gt_u32 s22, 7
	s_cbranch_scc1 .LBB5_71
; %bb.67:                               ;   in Loop: Header=BB5_31 Depth=1
	v_mov_b32_e32 v21, 0
	v_mov_b32_e32 v22, 0
	s_cmp_eq_u32 s22, 0
	s_cbranch_scc1 .LBB5_70
; %bb.68:                               ;   in Loop: Header=BB5_31 Depth=1
	s_mov_b64 s[18:19], 0
	s_mov_b64 s[20:21], 0
.LBB5_69:                               ;   Parent Loop BB5_31 Depth=1
                                        ; =>  This Inner Loop Header: Depth=2
	s_add_u32 s24, s4, s20
	s_addc_u32 s25, s5, s21
	s_add_u32 s20, s20, 1
	global_load_ubyte v9, v10, s[24:25]
	s_addc_u32 s21, s21, 0
	s_waitcnt vmcnt(0)
	v_and_b32_e32 v9, 0xffff, v9
	v_lshlrev_b64 v[23:24], s18, v[9:10]
	s_add_u32 s18, s18, 8
	s_addc_u32 s19, s19, 0
	s_cmp_lg_u32 s22, s20
	v_or_b32_e32 v21, v23, v21
	v_or_b32_e32 v22, v24, v22
	s_cbranch_scc1 .LBB5_69
.LBB5_70:                               ;   in Loop: Header=BB5_31 Depth=1
	s_mov_b32 s23, 0
	s_cbranch_execz .LBB5_72
	s_branch .LBB5_73
.LBB5_71:                               ;   in Loop: Header=BB5_31 Depth=1
                                        ; implicit-def: $vgpr21_vgpr22
                                        ; implicit-def: $sgpr23
.LBB5_72:                               ;   in Loop: Header=BB5_31 Depth=1
	global_load_dwordx2 v[21:22], v10, s[4:5]
	s_add_i32 s23, s22, -8
	s_add_u32 s4, s4, 8
	s_addc_u32 s5, s5, 0
.LBB5_73:                               ;   in Loop: Header=BB5_31 Depth=1
	s_cmp_gt_u32 s23, 7
	s_cbranch_scc1 .LBB5_78
; %bb.74:                               ;   in Loop: Header=BB5_31 Depth=1
	v_mov_b32_e32 v23, 0
	v_mov_b32_e32 v24, 0
	s_cmp_eq_u32 s23, 0
	s_cbranch_scc1 .LBB5_77
; %bb.75:                               ;   in Loop: Header=BB5_31 Depth=1
	s_mov_b64 s[18:19], 0
	s_mov_b64 s[20:21], s[4:5]
.LBB5_76:                               ;   Parent Loop BB5_31 Depth=1
                                        ; =>  This Inner Loop Header: Depth=2
	global_load_ubyte v9, v10, s[20:21]
	s_add_i32 s23, s23, -1
	s_waitcnt vmcnt(0)
	v_and_b32_e32 v9, 0xffff, v9
	v_lshlrev_b64 v[25:26], s18, v[9:10]
	s_add_u32 s18, s18, 8
	s_addc_u32 s19, s19, 0
	s_add_u32 s20, s20, 1
	s_addc_u32 s21, s21, 0
	s_cmp_lg_u32 s23, 0
	v_or_b32_e32 v23, v25, v23
	v_or_b32_e32 v24, v26, v24
	s_cbranch_scc1 .LBB5_76
.LBB5_77:                               ;   in Loop: Header=BB5_31 Depth=1
	s_cbranch_execz .LBB5_79
	s_branch .LBB5_80
.LBB5_78:                               ;   in Loop: Header=BB5_31 Depth=1
.LBB5_79:                               ;   in Loop: Header=BB5_31 Depth=1
	global_load_dwordx2 v[23:24], v10, s[4:5]
.LBB5_80:                               ;   in Loop: Header=BB5_31 Depth=1
	v_readfirstlane_b32 s4, v49
	v_mov_b32_e32 v29, 0
	v_mov_b32_e32 v30, 0
	v_cmp_eq_u32_e64 s4, s4, v49
	s_and_saveexec_b32 s5, s4
	s_cbranch_execz .LBB5_86
; %bb.81:                               ;   in Loop: Header=BB5_31 Depth=1
	global_load_dwordx2 v[27:28], v10, s[26:27] offset:24 glc dlc
	s_waitcnt vmcnt(0)
	buffer_gl1_inv
	buffer_gl0_inv
	s_clause 0x1
	global_load_dwordx2 v[25:26], v10, s[26:27] offset:40
	global_load_dwordx2 v[29:30], v10, s[26:27]
	s_mov_b32 s18, exec_lo
	s_waitcnt vmcnt(1)
	v_and_b32_e32 v9, v26, v28
	v_and_b32_e32 v25, v25, v27
	v_mul_lo_u32 v9, v9, 24
	v_mul_hi_u32 v26, v25, 24
	v_mul_lo_u32 v25, v25, 24
	v_add_nc_u32_e32 v9, v26, v9
	s_waitcnt vmcnt(0)
	v_add_co_u32 v25, vcc_lo, v29, v25
	v_add_co_ci_u32_e32 v26, vcc_lo, v30, v9, vcc_lo
	global_load_dwordx2 v[25:26], v[25:26], off glc dlc
	s_waitcnt vmcnt(0)
	global_atomic_cmpswap_x2 v[29:30], v10, v[25:28], s[26:27] offset:24 glc
	s_waitcnt vmcnt(0)
	buffer_gl1_inv
	buffer_gl0_inv
	v_cmpx_ne_u64_e64 v[29:30], v[27:28]
	s_cbranch_execz .LBB5_85
; %bb.82:                               ;   in Loop: Header=BB5_31 Depth=1
	s_mov_b32 s19, 0
	.p2align	6
.LBB5_83:                               ;   Parent Loop BB5_31 Depth=1
                                        ; =>  This Inner Loop Header: Depth=2
	s_sleep 1
	s_clause 0x1
	global_load_dwordx2 v[25:26], v10, s[26:27] offset:40
	global_load_dwordx2 v[32:33], v10, s[26:27]
	v_mov_b32_e32 v27, v29
	v_mov_b32_e32 v28, v30
	s_waitcnt vmcnt(1)
	v_and_b32_e32 v9, v25, v27
	v_and_b32_e32 v25, v26, v28
	s_waitcnt vmcnt(0)
	v_mad_u64_u32 v[29:30], null, v9, 24, v[32:33]
	v_mov_b32_e32 v9, v30
	v_mad_u64_u32 v[25:26], null, v25, 24, v[9:10]
	v_mov_b32_e32 v30, v25
	global_load_dwordx2 v[25:26], v[29:30], off glc dlc
	s_waitcnt vmcnt(0)
	global_atomic_cmpswap_x2 v[29:30], v10, v[25:28], s[26:27] offset:24 glc
	s_waitcnt vmcnt(0)
	buffer_gl1_inv
	buffer_gl0_inv
	v_cmp_eq_u64_e32 vcc_lo, v[29:30], v[27:28]
	s_or_b32 s19, vcc_lo, s19
	s_andn2_b32 exec_lo, exec_lo, s19
	s_cbranch_execnz .LBB5_83
; %bb.84:                               ;   in Loop: Header=BB5_31 Depth=1
	s_or_b32 exec_lo, exec_lo, s19
.LBB5_85:                               ;   in Loop: Header=BB5_31 Depth=1
	s_or_b32 exec_lo, exec_lo, s18
.LBB5_86:                               ;   in Loop: Header=BB5_31 Depth=1
	s_or_b32 exec_lo, exec_lo, s5
	s_clause 0x1
	global_load_dwordx2 v[32:33], v10, s[26:27] offset:40
	global_load_dwordx4 v[25:28], v10, s[26:27]
	v_readfirstlane_b32 s18, v29
	v_readfirstlane_b32 s19, v30
	s_mov_b32 s5, exec_lo
	s_waitcnt vmcnt(1)
	v_readfirstlane_b32 s20, v32
	v_readfirstlane_b32 s21, v33
	s_and_b64 s[20:21], s[18:19], s[20:21]
	s_mul_i32 s22, s21, 24
	s_mul_hi_u32 s23, s20, 24
	s_mul_i32 s24, s20, 24
	s_add_i32 s23, s23, s22
	s_waitcnt vmcnt(0)
	v_add_co_u32 v29, vcc_lo, v25, s24
	v_add_co_ci_u32_e32 v30, vcc_lo, s23, v26, vcc_lo
	s_and_saveexec_b32 s22, s4
	s_cbranch_execz .LBB5_88
; %bb.87:                               ;   in Loop: Header=BB5_31 Depth=1
	v_mov_b32_e32 v9, s5
	global_store_dwordx4 v[29:30], v[9:12], off offset:8
.LBB5_88:                               ;   in Loop: Header=BB5_31 Depth=1
	s_or_b32 exec_lo, exec_lo, s22
	s_lshl_b64 s[20:21], s[20:21], 12
	v_cmp_gt_u64_e64 vcc_lo, s[10:11], 56
	v_or_b32_e32 v32, v0, v31
	v_add_co_u32 v27, s5, v27, s20
	v_add_co_ci_u32_e64 v28, s5, s21, v28, s5
	s_lshl_b32 s5, s16, 2
	v_or_b32_e32 v9, 0, v1
	v_cndmask_b32_e32 v0, v32, v0, vcc_lo
	s_add_i32 s5, s5, 28
	v_readfirstlane_b32 s20, v27
	s_and_b32 s5, s5, 0x1e0
	v_cndmask_b32_e32 v1, v9, v1, vcc_lo
	v_readfirstlane_b32 s21, v28
	v_and_or_b32 v0, 0xffffff1f, v0, s5
	global_store_dwordx4 v48, v[0:3], s[20:21]
	global_store_dwordx4 v48, v[13:16], s[20:21] offset:16
	global_store_dwordx4 v48, v[17:20], s[20:21] offset:32
	;; [unrolled: 1-line block ×3, first 2 shown]
	s_and_saveexec_b32 s5, s4
	s_cbranch_execz .LBB5_96
; %bb.89:                               ;   in Loop: Header=BB5_31 Depth=1
	s_clause 0x1
	global_load_dwordx2 v[17:18], v10, s[26:27] offset:32 glc dlc
	global_load_dwordx2 v[0:1], v10, s[26:27] offset:40
	v_mov_b32_e32 v15, s18
	v_mov_b32_e32 v16, s19
	s_waitcnt vmcnt(0)
	v_readfirstlane_b32 s20, v0
	v_readfirstlane_b32 s21, v1
	s_and_b64 s[20:21], s[20:21], s[18:19]
	s_mul_i32 s21, s21, 24
	s_mul_hi_u32 s22, s20, 24
	s_mul_i32 s20, s20, 24
	s_add_i32 s22, s22, s21
	v_add_co_u32 v13, vcc_lo, v25, s20
	v_add_co_ci_u32_e32 v14, vcc_lo, s22, v26, vcc_lo
	s_mov_b32 s20, exec_lo
	global_store_dwordx2 v[13:14], v[17:18], off
	s_waitcnt_vscnt null, 0x0
	global_atomic_cmpswap_x2 v[2:3], v10, v[15:18], s[26:27] offset:32 glc
	s_waitcnt vmcnt(0)
	v_cmpx_ne_u64_e64 v[2:3], v[17:18]
	s_cbranch_execz .LBB5_92
; %bb.90:                               ;   in Loop: Header=BB5_31 Depth=1
	s_mov_b32 s21, 0
.LBB5_91:                               ;   Parent Loop BB5_31 Depth=1
                                        ; =>  This Inner Loop Header: Depth=2
	v_mov_b32_e32 v0, s18
	v_mov_b32_e32 v1, s19
	s_sleep 1
	global_store_dwordx2 v[13:14], v[2:3], off
	s_waitcnt_vscnt null, 0x0
	global_atomic_cmpswap_x2 v[0:1], v10, v[0:3], s[26:27] offset:32 glc
	s_waitcnt vmcnt(0)
	v_cmp_eq_u64_e32 vcc_lo, v[0:1], v[2:3]
	v_mov_b32_e32 v3, v1
	v_mov_b32_e32 v2, v0
	s_or_b32 s21, vcc_lo, s21
	s_andn2_b32 exec_lo, exec_lo, s21
	s_cbranch_execnz .LBB5_91
.LBB5_92:                               ;   in Loop: Header=BB5_31 Depth=1
	s_or_b32 exec_lo, exec_lo, s20
	global_load_dwordx2 v[0:1], v10, s[26:27] offset:16
	s_mov_b32 s21, exec_lo
	s_mov_b32 s20, exec_lo
	v_mbcnt_lo_u32_b32 v2, s21, 0
	v_cmpx_eq_u32_e32 0, v2
	s_cbranch_execz .LBB5_94
; %bb.93:                               ;   in Loop: Header=BB5_31 Depth=1
	s_bcnt1_i32_b32 s21, s21
	v_mov_b32_e32 v9, s21
	s_waitcnt vmcnt(0)
	global_atomic_add_x2 v[0:1], v[9:10], off offset:8
.LBB5_94:                               ;   in Loop: Header=BB5_31 Depth=1
	s_or_b32 exec_lo, exec_lo, s20
	s_waitcnt vmcnt(0)
	global_load_dwordx2 v[2:3], v[0:1], off offset:16
	s_waitcnt vmcnt(0)
	v_cmp_eq_u64_e32 vcc_lo, 0, v[2:3]
	s_cbranch_vccnz .LBB5_96
; %bb.95:                               ;   in Loop: Header=BB5_31 Depth=1
	global_load_dword v9, v[0:1], off offset:24
	s_waitcnt vmcnt(0)
	v_and_b32_e32 v0, 0x7fffff, v9
	s_waitcnt_vscnt null, 0x0
	global_store_dwordx2 v[2:3], v[9:10], off
	v_readfirstlane_b32 m0, v0
	s_sendmsg sendmsg(MSG_INTERRUPT)
.LBB5_96:                               ;   in Loop: Header=BB5_31 Depth=1
	s_or_b32 exec_lo, exec_lo, s5
	v_add_co_u32 v0, vcc_lo, v27, v48
	v_add_co_ci_u32_e32 v1, vcc_lo, 0, v28, vcc_lo
	s_branch .LBB5_100
	.p2align	6
.LBB5_97:                               ;   in Loop: Header=BB5_100 Depth=2
	s_or_b32 exec_lo, exec_lo, s5
	v_readfirstlane_b32 s5, v2
	s_cmp_eq_u32 s5, 0
	s_cbranch_scc1 .LBB5_99
; %bb.98:                               ;   in Loop: Header=BB5_100 Depth=2
	s_sleep 1
	s_cbranch_execnz .LBB5_100
	s_branch .LBB5_102
	.p2align	6
.LBB5_99:                               ;   in Loop: Header=BB5_31 Depth=1
	s_branch .LBB5_102
.LBB5_100:                              ;   Parent Loop BB5_31 Depth=1
                                        ; =>  This Inner Loop Header: Depth=2
	v_mov_b32_e32 v2, 1
	s_and_saveexec_b32 s5, s4
	s_cbranch_execz .LBB5_97
; %bb.101:                              ;   in Loop: Header=BB5_100 Depth=2
	global_load_dword v2, v[29:30], off offset:20 glc dlc
	s_waitcnt vmcnt(0)
	buffer_gl1_inv
	buffer_gl0_inv
	v_and_b32_e32 v2, 1, v2
	s_branch .LBB5_97
.LBB5_102:                              ;   in Loop: Header=BB5_31 Depth=1
	global_load_dwordx4 v[0:3], v[0:1], off
	s_and_saveexec_b32 s5, s4
	s_cbranch_execz .LBB5_30
; %bb.103:                              ;   in Loop: Header=BB5_31 Depth=1
	s_clause 0x2
	global_load_dwordx2 v[2:3], v10, s[26:27] offset:40
	global_load_dwordx2 v[17:18], v10, s[26:27] offset:24 glc dlc
	global_load_dwordx2 v[15:16], v10, s[26:27]
	s_waitcnt vmcnt(2)
	v_add_co_u32 v9, vcc_lo, v2, 1
	v_add_co_ci_u32_e32 v19, vcc_lo, 0, v3, vcc_lo
	v_add_co_u32 v13, vcc_lo, v9, s18
	v_add_co_ci_u32_e32 v14, vcc_lo, s19, v19, vcc_lo
	v_cmp_eq_u64_e32 vcc_lo, 0, v[13:14]
	v_cndmask_b32_e32 v14, v14, v19, vcc_lo
	v_cndmask_b32_e32 v13, v13, v9, vcc_lo
	v_and_b32_e32 v3, v14, v3
	v_and_b32_e32 v2, v13, v2
	v_mul_lo_u32 v3, v3, 24
	v_mul_hi_u32 v9, v2, 24
	v_mul_lo_u32 v2, v2, 24
	v_add_nc_u32_e32 v3, v9, v3
	s_waitcnt vmcnt(0)
	v_add_co_u32 v2, vcc_lo, v15, v2
	v_mov_b32_e32 v15, v17
	v_add_co_ci_u32_e32 v3, vcc_lo, v16, v3, vcc_lo
	v_mov_b32_e32 v16, v18
	global_store_dwordx2 v[2:3], v[17:18], off
	s_waitcnt_vscnt null, 0x0
	global_atomic_cmpswap_x2 v[15:16], v10, v[13:16], s[26:27] offset:24 glc
	s_waitcnt vmcnt(0)
	v_cmp_ne_u64_e32 vcc_lo, v[15:16], v[17:18]
	s_and_b32 exec_lo, exec_lo, vcc_lo
	s_cbranch_execz .LBB5_30
; %bb.104:                              ;   in Loop: Header=BB5_31 Depth=1
	s_mov_b32 s4, 0
.LBB5_105:                              ;   Parent Loop BB5_31 Depth=1
                                        ; =>  This Inner Loop Header: Depth=2
	s_sleep 1
	global_store_dwordx2 v[2:3], v[15:16], off
	s_waitcnt_vscnt null, 0x0
	global_atomic_cmpswap_x2 v[17:18], v10, v[13:16], s[26:27] offset:24 glc
	s_waitcnt vmcnt(0)
	v_cmp_eq_u64_e32 vcc_lo, v[17:18], v[15:16]
	v_mov_b32_e32 v15, v17
	v_mov_b32_e32 v16, v18
	s_or_b32 s4, vcc_lo, s4
	s_andn2_b32 exec_lo, exec_lo, s4
	s_cbranch_execnz .LBB5_105
	s_branch .LBB5_30
.LBB5_106:
	s_branch .LBB5_135
.LBB5_107:
                                        ; implicit-def: $vgpr0_vgpr1
	s_cbranch_execz .LBB5_135
; %bb.108:
	v_readfirstlane_b32 s4, v49
	v_mov_b32_e32 v10, 0
	v_mov_b32_e32 v11, 0
	v_cmp_eq_u32_e64 s4, s4, v49
	s_and_saveexec_b32 s5, s4
	s_cbranch_execz .LBB5_114
; %bb.109:
	s_waitcnt vmcnt(0)
	v_mov_b32_e32 v0, 0
	s_mov_b32 s6, exec_lo
	global_load_dwordx2 v[12:13], v0, s[26:27] offset:24 glc dlc
	s_waitcnt vmcnt(0)
	buffer_gl1_inv
	buffer_gl0_inv
	s_clause 0x1
	global_load_dwordx2 v[1:2], v0, s[26:27] offset:40
	global_load_dwordx2 v[9:10], v0, s[26:27]
	s_waitcnt vmcnt(1)
	v_and_b32_e32 v2, v2, v13
	v_and_b32_e32 v1, v1, v12
	v_mul_lo_u32 v2, v2, 24
	v_mul_hi_u32 v3, v1, 24
	v_mul_lo_u32 v1, v1, 24
	v_add_nc_u32_e32 v2, v3, v2
	s_waitcnt vmcnt(0)
	v_add_co_u32 v1, vcc_lo, v9, v1
	v_add_co_ci_u32_e32 v2, vcc_lo, v10, v2, vcc_lo
	global_load_dwordx2 v[10:11], v[1:2], off glc dlc
	s_waitcnt vmcnt(0)
	global_atomic_cmpswap_x2 v[10:11], v0, v[10:13], s[26:27] offset:24 glc
	s_waitcnt vmcnt(0)
	buffer_gl1_inv
	buffer_gl0_inv
	v_cmpx_ne_u64_e64 v[10:11], v[12:13]
	s_cbranch_execz .LBB5_113
; %bb.110:
	s_mov_b32 s7, 0
	.p2align	6
.LBB5_111:                              ; =>This Inner Loop Header: Depth=1
	s_sleep 1
	s_clause 0x1
	global_load_dwordx2 v[1:2], v0, s[26:27] offset:40
	global_load_dwordx2 v[14:15], v0, s[26:27]
	v_mov_b32_e32 v13, v11
	v_mov_b32_e32 v12, v10
	s_waitcnt vmcnt(1)
	v_and_b32_e32 v1, v1, v12
	v_and_b32_e32 v2, v2, v13
	s_waitcnt vmcnt(0)
	v_mad_u64_u32 v[9:10], null, v1, 24, v[14:15]
	v_mov_b32_e32 v1, v10
	v_mad_u64_u32 v[1:2], null, v2, 24, v[1:2]
	v_mov_b32_e32 v10, v1
	global_load_dwordx2 v[10:11], v[9:10], off glc dlc
	s_waitcnt vmcnt(0)
	global_atomic_cmpswap_x2 v[10:11], v0, v[10:13], s[26:27] offset:24 glc
	s_waitcnt vmcnt(0)
	buffer_gl1_inv
	buffer_gl0_inv
	v_cmp_eq_u64_e32 vcc_lo, v[10:11], v[12:13]
	s_or_b32 s7, vcc_lo, s7
	s_andn2_b32 exec_lo, exec_lo, s7
	s_cbranch_execnz .LBB5_111
; %bb.112:
	s_or_b32 exec_lo, exec_lo, s7
.LBB5_113:
	s_or_b32 exec_lo, exec_lo, s6
.LBB5_114:
	s_or_b32 exec_lo, exec_lo, s5
	v_mov_b32_e32 v9, 0
	v_readfirstlane_b32 s6, v10
	v_readfirstlane_b32 s7, v11
	s_mov_b32 s5, exec_lo
	s_clause 0x1
	global_load_dwordx2 v[12:13], v9, s[26:27] offset:40
	global_load_dwordx4 v[0:3], v9, s[26:27]
	s_waitcnt vmcnt(1)
	v_readfirstlane_b32 s10, v12
	v_readfirstlane_b32 s11, v13
	s_and_b64 s[10:11], s[6:7], s[10:11]
	s_mul_i32 s16, s11, 24
	s_mul_hi_u32 s17, s10, 24
	s_mul_i32 s18, s10, 24
	s_add_i32 s17, s17, s16
	s_waitcnt vmcnt(0)
	v_add_co_u32 v11, vcc_lo, v0, s18
	v_add_co_ci_u32_e32 v12, vcc_lo, s17, v1, vcc_lo
	s_and_saveexec_b32 s16, s4
	s_cbranch_execz .LBB5_116
; %bb.115:
	v_mov_b32_e32 v13, s5
	v_mov_b32_e32 v14, v9
	;; [unrolled: 1-line block ×4, first 2 shown]
	global_store_dwordx4 v[11:12], v[13:16], off offset:8
.LBB5_116:
	s_or_b32 exec_lo, exec_lo, s16
	s_lshl_b64 s[10:11], s[10:11], 12
	s_mov_b32 s16, 0
	v_add_co_u32 v2, vcc_lo, v2, s10
	v_add_co_ci_u32_e32 v3, vcc_lo, s11, v3, vcc_lo
	s_mov_b32 s17, s16
	v_add_co_u32 v13, vcc_lo, v2, v48
	s_mov_b32 s18, s16
	s_mov_b32 s19, s16
	v_and_or_b32 v7, 0xffffff1f, v7, 32
	v_mov_b32_e32 v10, v9
	v_readfirstlane_b32 s10, v2
	v_readfirstlane_b32 s11, v3
	v_mov_b32_e32 v15, s16
	v_add_co_ci_u32_e32 v14, vcc_lo, 0, v3, vcc_lo
	v_mov_b32_e32 v16, s17
	v_mov_b32_e32 v17, s18
	;; [unrolled: 1-line block ×3, first 2 shown]
	global_store_dwordx4 v48, v[7:10], s[10:11]
	global_store_dwordx4 v48, v[15:18], s[10:11] offset:16
	global_store_dwordx4 v48, v[15:18], s[10:11] offset:32
	;; [unrolled: 1-line block ×3, first 2 shown]
	s_and_saveexec_b32 s5, s4
	s_cbranch_execz .LBB5_124
; %bb.117:
	v_mov_b32_e32 v9, 0
	v_mov_b32_e32 v15, s6
	;; [unrolled: 1-line block ×3, first 2 shown]
	s_clause 0x1
	global_load_dwordx2 v[17:18], v9, s[26:27] offset:32 glc dlc
	global_load_dwordx2 v[2:3], v9, s[26:27] offset:40
	s_waitcnt vmcnt(0)
	v_readfirstlane_b32 s10, v2
	v_readfirstlane_b32 s11, v3
	s_and_b64 s[10:11], s[10:11], s[6:7]
	s_mul_i32 s11, s11, 24
	s_mul_hi_u32 s16, s10, 24
	s_mul_i32 s10, s10, 24
	s_add_i32 s16, s16, s11
	v_add_co_u32 v7, vcc_lo, v0, s10
	v_add_co_ci_u32_e32 v8, vcc_lo, s16, v1, vcc_lo
	s_mov_b32 s10, exec_lo
	global_store_dwordx2 v[7:8], v[17:18], off
	s_waitcnt_vscnt null, 0x0
	global_atomic_cmpswap_x2 v[2:3], v9, v[15:18], s[26:27] offset:32 glc
	s_waitcnt vmcnt(0)
	v_cmpx_ne_u64_e64 v[2:3], v[17:18]
	s_cbranch_execz .LBB5_120
; %bb.118:
	s_mov_b32 s11, 0
.LBB5_119:                              ; =>This Inner Loop Header: Depth=1
	v_mov_b32_e32 v0, s6
	v_mov_b32_e32 v1, s7
	s_sleep 1
	global_store_dwordx2 v[7:8], v[2:3], off
	s_waitcnt_vscnt null, 0x0
	global_atomic_cmpswap_x2 v[0:1], v9, v[0:3], s[26:27] offset:32 glc
	s_waitcnt vmcnt(0)
	v_cmp_eq_u64_e32 vcc_lo, v[0:1], v[2:3]
	v_mov_b32_e32 v3, v1
	v_mov_b32_e32 v2, v0
	s_or_b32 s11, vcc_lo, s11
	s_andn2_b32 exec_lo, exec_lo, s11
	s_cbranch_execnz .LBB5_119
.LBB5_120:
	s_or_b32 exec_lo, exec_lo, s10
	v_mov_b32_e32 v3, 0
	s_mov_b32 s11, exec_lo
	s_mov_b32 s10, exec_lo
	v_mbcnt_lo_u32_b32 v2, s11, 0
	global_load_dwordx2 v[0:1], v3, s[26:27] offset:16
	v_cmpx_eq_u32_e32 0, v2
	s_cbranch_execz .LBB5_122
; %bb.121:
	s_bcnt1_i32_b32 s11, s11
	v_mov_b32_e32 v2, s11
	s_waitcnt vmcnt(0)
	global_atomic_add_x2 v[0:1], v[2:3], off offset:8
.LBB5_122:
	s_or_b32 exec_lo, exec_lo, s10
	s_waitcnt vmcnt(0)
	global_load_dwordx2 v[2:3], v[0:1], off offset:16
	s_waitcnt vmcnt(0)
	v_cmp_eq_u64_e32 vcc_lo, 0, v[2:3]
	s_cbranch_vccnz .LBB5_124
; %bb.123:
	global_load_dword v0, v[0:1], off offset:24
	v_mov_b32_e32 v1, 0
	s_waitcnt vmcnt(0)
	v_and_b32_e32 v7, 0x7fffff, v0
	s_waitcnt_vscnt null, 0x0
	global_store_dwordx2 v[2:3], v[0:1], off
	v_readfirstlane_b32 m0, v7
	s_sendmsg sendmsg(MSG_INTERRUPT)
.LBB5_124:
	s_or_b32 exec_lo, exec_lo, s5
	s_branch .LBB5_128
	.p2align	6
.LBB5_125:                              ;   in Loop: Header=BB5_128 Depth=1
	s_or_b32 exec_lo, exec_lo, s5
	v_readfirstlane_b32 s5, v0
	s_cmp_eq_u32 s5, 0
	s_cbranch_scc1 .LBB5_127
; %bb.126:                              ;   in Loop: Header=BB5_128 Depth=1
	s_sleep 1
	s_cbranch_execnz .LBB5_128
	s_branch .LBB5_130
	.p2align	6
.LBB5_127:
	s_branch .LBB5_130
.LBB5_128:                              ; =>This Inner Loop Header: Depth=1
	v_mov_b32_e32 v0, 1
	s_and_saveexec_b32 s5, s4
	s_cbranch_execz .LBB5_125
; %bb.129:                              ;   in Loop: Header=BB5_128 Depth=1
	global_load_dword v0, v[11:12], off offset:20 glc dlc
	s_waitcnt vmcnt(0)
	buffer_gl1_inv
	buffer_gl0_inv
	v_and_b32_e32 v0, 1, v0
	s_branch .LBB5_125
.LBB5_130:
	global_load_dwordx2 v[0:1], v[13:14], off
	s_and_saveexec_b32 s5, s4
	s_cbranch_execz .LBB5_134
; %bb.131:
	v_mov_b32_e32 v11, 0
	s_clause 0x2
	global_load_dwordx2 v[2:3], v11, s[26:27] offset:40
	global_load_dwordx2 v[12:13], v11, s[26:27] offset:24 glc dlc
	global_load_dwordx2 v[9:10], v11, s[26:27]
	s_waitcnt vmcnt(2)
	v_add_co_u32 v14, vcc_lo, v2, 1
	v_add_co_ci_u32_e32 v15, vcc_lo, 0, v3, vcc_lo
	v_add_co_u32 v7, vcc_lo, v14, s6
	v_add_co_ci_u32_e32 v8, vcc_lo, s7, v15, vcc_lo
	v_cmp_eq_u64_e32 vcc_lo, 0, v[7:8]
	v_cndmask_b32_e32 v8, v8, v15, vcc_lo
	v_cndmask_b32_e32 v7, v7, v14, vcc_lo
	v_and_b32_e32 v3, v8, v3
	v_and_b32_e32 v2, v7, v2
	v_mul_lo_u32 v3, v3, 24
	v_mul_hi_u32 v14, v2, 24
	v_mul_lo_u32 v2, v2, 24
	v_add_nc_u32_e32 v3, v14, v3
	s_waitcnt vmcnt(0)
	v_add_co_u32 v2, vcc_lo, v9, v2
	v_mov_b32_e32 v9, v12
	v_add_co_ci_u32_e32 v3, vcc_lo, v10, v3, vcc_lo
	v_mov_b32_e32 v10, v13
	global_store_dwordx2 v[2:3], v[12:13], off
	s_waitcnt_vscnt null, 0x0
	global_atomic_cmpswap_x2 v[9:10], v11, v[7:10], s[26:27] offset:24 glc
	s_waitcnt vmcnt(0)
	v_cmp_ne_u64_e32 vcc_lo, v[9:10], v[12:13]
	s_and_b32 exec_lo, exec_lo, vcc_lo
	s_cbranch_execz .LBB5_134
; %bb.132:
	s_mov_b32 s4, 0
.LBB5_133:                              ; =>This Inner Loop Header: Depth=1
	s_sleep 1
	global_store_dwordx2 v[2:3], v[9:10], off
	s_waitcnt_vscnt null, 0x0
	global_atomic_cmpswap_x2 v[12:13], v11, v[7:10], s[26:27] offset:24 glc
	s_waitcnt vmcnt(0)
	v_cmp_eq_u64_e32 vcc_lo, v[12:13], v[9:10]
	v_mov_b32_e32 v9, v12
	v_mov_b32_e32 v10, v13
	s_or_b32 s4, vcc_lo, s4
	s_andn2_b32 exec_lo, exec_lo, s4
	s_cbranch_execnz .LBB5_133
.LBB5_134:
	s_or_b32 exec_lo, exec_lo, s5
.LBB5_135:
	s_getpc_b64 s[6:7]
	s_add_u32 s6, s6, __PRETTY_FUNCTION__._ZL22make_array_mixed_typesRN8migraphx4test12test_managerE@rel32@lo+4
	s_addc_u32 s7, s7, __PRETTY_FUNCTION__._ZL22make_array_mixed_typesRN8migraphx4test12test_managerE@rel32@hi+12
	s_cmp_lg_u64 s[6:7], 0
	s_cbranch_scc0 .LBB5_214
; %bb.136:
	s_waitcnt vmcnt(0)
	v_and_b32_e32 v11, -3, v0
	v_mov_b32_e32 v12, v1
	v_mov_b32_e32 v8, 0
	;; [unrolled: 1-line block ×4, first 2 shown]
	s_mov_b64 s[10:11], 60
	s_branch .LBB5_138
.LBB5_137:                              ;   in Loop: Header=BB5_138 Depth=1
	s_or_b32 exec_lo, exec_lo, s5
	s_sub_u32 s10, s10, s16
	s_subb_u32 s11, s11, s17
	s_add_u32 s6, s6, s16
	s_addc_u32 s7, s7, s17
	s_cmp_lg_u64 s[10:11], 0
	s_cbranch_scc0 .LBB5_213
.LBB5_138:                              ; =>This Loop Header: Depth=1
                                        ;     Child Loop BB5_147 Depth 2
                                        ;     Child Loop BB5_143 Depth 2
	;; [unrolled: 1-line block ×11, first 2 shown]
	v_cmp_lt_u64_e64 s4, s[10:11], 56
	v_cmp_gt_u64_e64 s5, s[10:11], 7
                                        ; implicit-def: $sgpr22
	s_and_b32 s4, s4, exec_lo
	s_cselect_b32 s17, s11, 0
	s_cselect_b32 s16, s10, 56
	s_and_b32 vcc_lo, exec_lo, s5
	s_mov_b32 s4, -1
	s_cbranch_vccz .LBB5_145
; %bb.139:                              ;   in Loop: Header=BB5_138 Depth=1
	s_andn2_b32 vcc_lo, exec_lo, s4
	s_mov_b64 s[4:5], s[6:7]
	s_cbranch_vccz .LBB5_149
.LBB5_140:                              ;   in Loop: Header=BB5_138 Depth=1
	s_cmp_gt_u32 s22, 7
	s_cbranch_scc1 .LBB5_150
.LBB5_141:                              ;   in Loop: Header=BB5_138 Depth=1
	v_mov_b32_e32 v15, 0
	v_mov_b32_e32 v16, 0
	s_cmp_eq_u32 s22, 0
	s_cbranch_scc1 .LBB5_144
; %bb.142:                              ;   in Loop: Header=BB5_138 Depth=1
	s_mov_b64 s[18:19], 0
	s_mov_b64 s[20:21], 0
.LBB5_143:                              ;   Parent Loop BB5_138 Depth=1
                                        ; =>  This Inner Loop Header: Depth=2
	s_add_u32 s24, s4, s20
	s_addc_u32 s25, s5, s21
	s_add_u32 s20, s20, 1
	global_load_ubyte v2, v8, s[24:25]
	s_addc_u32 s21, s21, 0
	s_waitcnt vmcnt(0)
	v_and_b32_e32 v7, 0xffff, v2
	v_lshlrev_b64 v[2:3], s18, v[7:8]
	s_add_u32 s18, s18, 8
	s_addc_u32 s19, s19, 0
	s_cmp_lg_u32 s22, s20
	v_or_b32_e32 v15, v2, v15
	v_or_b32_e32 v16, v3, v16
	s_cbranch_scc1 .LBB5_143
.LBB5_144:                              ;   in Loop: Header=BB5_138 Depth=1
	s_mov_b32 s23, 0
	s_cbranch_execz .LBB5_151
	s_branch .LBB5_152
.LBB5_145:                              ;   in Loop: Header=BB5_138 Depth=1
	s_waitcnt vmcnt(0)
	v_mov_b32_e32 v13, 0
	v_mov_b32_e32 v14, 0
	s_cmp_eq_u64 s[10:11], 0
	s_mov_b64 s[4:5], 0
	s_cbranch_scc1 .LBB5_148
; %bb.146:                              ;   in Loop: Header=BB5_138 Depth=1
	v_mov_b32_e32 v13, 0
	v_mov_b32_e32 v14, 0
	s_lshl_b64 s[18:19], s[16:17], 3
	s_mov_b64 s[20:21], s[6:7]
.LBB5_147:                              ;   Parent Loop BB5_138 Depth=1
                                        ; =>  This Inner Loop Header: Depth=2
	global_load_ubyte v2, v8, s[20:21]
	s_waitcnt vmcnt(0)
	v_and_b32_e32 v7, 0xffff, v2
	v_lshlrev_b64 v[2:3], s4, v[7:8]
	s_add_u32 s4, s4, 8
	s_addc_u32 s5, s5, 0
	s_add_u32 s20, s20, 1
	s_addc_u32 s21, s21, 0
	s_cmp_lg_u32 s18, s4
	v_or_b32_e32 v13, v2, v13
	v_or_b32_e32 v14, v3, v14
	s_cbranch_scc1 .LBB5_147
.LBB5_148:                              ;   in Loop: Header=BB5_138 Depth=1
	s_mov_b32 s22, 0
	s_mov_b64 s[4:5], s[6:7]
	s_cbranch_execnz .LBB5_140
.LBB5_149:                              ;   in Loop: Header=BB5_138 Depth=1
	global_load_dwordx2 v[13:14], v8, s[6:7]
	s_add_i32 s22, s16, -8
	s_add_u32 s4, s6, 8
	s_addc_u32 s5, s7, 0
	s_cmp_gt_u32 s22, 7
	s_cbranch_scc0 .LBB5_141
.LBB5_150:                              ;   in Loop: Header=BB5_138 Depth=1
                                        ; implicit-def: $vgpr15_vgpr16
                                        ; implicit-def: $sgpr23
.LBB5_151:                              ;   in Loop: Header=BB5_138 Depth=1
	global_load_dwordx2 v[15:16], v8, s[4:5]
	s_add_i32 s23, s22, -8
	s_add_u32 s4, s4, 8
	s_addc_u32 s5, s5, 0
.LBB5_152:                              ;   in Loop: Header=BB5_138 Depth=1
	s_cmp_gt_u32 s23, 7
	s_cbranch_scc1 .LBB5_157
; %bb.153:                              ;   in Loop: Header=BB5_138 Depth=1
	v_mov_b32_e32 v17, 0
	v_mov_b32_e32 v18, 0
	s_cmp_eq_u32 s23, 0
	s_cbranch_scc1 .LBB5_156
; %bb.154:                              ;   in Loop: Header=BB5_138 Depth=1
	s_mov_b64 s[18:19], 0
	s_mov_b64 s[20:21], 0
.LBB5_155:                              ;   Parent Loop BB5_138 Depth=1
                                        ; =>  This Inner Loop Header: Depth=2
	s_add_u32 s24, s4, s20
	s_addc_u32 s25, s5, s21
	s_add_u32 s20, s20, 1
	global_load_ubyte v2, v8, s[24:25]
	s_addc_u32 s21, s21, 0
	s_waitcnt vmcnt(0)
	v_and_b32_e32 v7, 0xffff, v2
	v_lshlrev_b64 v[2:3], s18, v[7:8]
	s_add_u32 s18, s18, 8
	s_addc_u32 s19, s19, 0
	s_cmp_lg_u32 s23, s20
	v_or_b32_e32 v17, v2, v17
	v_or_b32_e32 v18, v3, v18
	s_cbranch_scc1 .LBB5_155
.LBB5_156:                              ;   in Loop: Header=BB5_138 Depth=1
	s_mov_b32 s22, 0
	s_cbranch_execz .LBB5_158
	s_branch .LBB5_159
.LBB5_157:                              ;   in Loop: Header=BB5_138 Depth=1
                                        ; implicit-def: $sgpr22
.LBB5_158:                              ;   in Loop: Header=BB5_138 Depth=1
	global_load_dwordx2 v[17:18], v8, s[4:5]
	s_add_i32 s22, s23, -8
	s_add_u32 s4, s4, 8
	s_addc_u32 s5, s5, 0
.LBB5_159:                              ;   in Loop: Header=BB5_138 Depth=1
	s_cmp_gt_u32 s22, 7
	s_cbranch_scc1 .LBB5_164
; %bb.160:                              ;   in Loop: Header=BB5_138 Depth=1
	v_mov_b32_e32 v19, 0
	v_mov_b32_e32 v20, 0
	s_cmp_eq_u32 s22, 0
	s_cbranch_scc1 .LBB5_163
; %bb.161:                              ;   in Loop: Header=BB5_138 Depth=1
	s_mov_b64 s[18:19], 0
	s_mov_b64 s[20:21], 0
.LBB5_162:                              ;   Parent Loop BB5_138 Depth=1
                                        ; =>  This Inner Loop Header: Depth=2
	s_add_u32 s24, s4, s20
	s_addc_u32 s25, s5, s21
	s_add_u32 s20, s20, 1
	global_load_ubyte v2, v8, s[24:25]
	s_addc_u32 s21, s21, 0
	s_waitcnt vmcnt(0)
	v_and_b32_e32 v7, 0xffff, v2
	v_lshlrev_b64 v[2:3], s18, v[7:8]
	s_add_u32 s18, s18, 8
	s_addc_u32 s19, s19, 0
	s_cmp_lg_u32 s22, s20
	v_or_b32_e32 v19, v2, v19
	v_or_b32_e32 v20, v3, v20
	s_cbranch_scc1 .LBB5_162
.LBB5_163:                              ;   in Loop: Header=BB5_138 Depth=1
	s_mov_b32 s23, 0
	s_cbranch_execz .LBB5_165
	s_branch .LBB5_166
.LBB5_164:                              ;   in Loop: Header=BB5_138 Depth=1
                                        ; implicit-def: $vgpr19_vgpr20
                                        ; implicit-def: $sgpr23
.LBB5_165:                              ;   in Loop: Header=BB5_138 Depth=1
	global_load_dwordx2 v[19:20], v8, s[4:5]
	s_add_i32 s23, s22, -8
	s_add_u32 s4, s4, 8
	s_addc_u32 s5, s5, 0
.LBB5_166:                              ;   in Loop: Header=BB5_138 Depth=1
	s_cmp_gt_u32 s23, 7
	s_cbranch_scc1 .LBB5_171
; %bb.167:                              ;   in Loop: Header=BB5_138 Depth=1
	v_mov_b32_e32 v21, 0
	v_mov_b32_e32 v22, 0
	s_cmp_eq_u32 s23, 0
	s_cbranch_scc1 .LBB5_170
; %bb.168:                              ;   in Loop: Header=BB5_138 Depth=1
	s_mov_b64 s[18:19], 0
	s_mov_b64 s[20:21], 0
.LBB5_169:                              ;   Parent Loop BB5_138 Depth=1
                                        ; =>  This Inner Loop Header: Depth=2
	s_add_u32 s24, s4, s20
	s_addc_u32 s25, s5, s21
	s_add_u32 s20, s20, 1
	global_load_ubyte v2, v8, s[24:25]
	s_addc_u32 s21, s21, 0
	s_waitcnt vmcnt(0)
	v_and_b32_e32 v7, 0xffff, v2
	v_lshlrev_b64 v[2:3], s18, v[7:8]
	s_add_u32 s18, s18, 8
	s_addc_u32 s19, s19, 0
	s_cmp_lg_u32 s23, s20
	v_or_b32_e32 v21, v2, v21
	v_or_b32_e32 v22, v3, v22
	s_cbranch_scc1 .LBB5_169
.LBB5_170:                              ;   in Loop: Header=BB5_138 Depth=1
	s_mov_b32 s22, 0
	s_cbranch_execz .LBB5_172
	s_branch .LBB5_173
.LBB5_171:                              ;   in Loop: Header=BB5_138 Depth=1
                                        ; implicit-def: $sgpr22
.LBB5_172:                              ;   in Loop: Header=BB5_138 Depth=1
	global_load_dwordx2 v[21:22], v8, s[4:5]
	s_add_i32 s22, s23, -8
	s_add_u32 s4, s4, 8
	s_addc_u32 s5, s5, 0
.LBB5_173:                              ;   in Loop: Header=BB5_138 Depth=1
	s_cmp_gt_u32 s22, 7
	s_cbranch_scc1 .LBB5_178
; %bb.174:                              ;   in Loop: Header=BB5_138 Depth=1
	v_mov_b32_e32 v23, 0
	v_mov_b32_e32 v24, 0
	s_cmp_eq_u32 s22, 0
	s_cbranch_scc1 .LBB5_177
; %bb.175:                              ;   in Loop: Header=BB5_138 Depth=1
	s_mov_b64 s[18:19], 0
	s_mov_b64 s[20:21], 0
.LBB5_176:                              ;   Parent Loop BB5_138 Depth=1
                                        ; =>  This Inner Loop Header: Depth=2
	s_add_u32 s24, s4, s20
	s_addc_u32 s25, s5, s21
	s_add_u32 s20, s20, 1
	global_load_ubyte v2, v8, s[24:25]
	s_addc_u32 s21, s21, 0
	s_waitcnt vmcnt(0)
	v_and_b32_e32 v7, 0xffff, v2
	v_lshlrev_b64 v[2:3], s18, v[7:8]
	s_add_u32 s18, s18, 8
	s_addc_u32 s19, s19, 0
	s_cmp_lg_u32 s22, s20
	v_or_b32_e32 v23, v2, v23
	v_or_b32_e32 v24, v3, v24
	s_cbranch_scc1 .LBB5_176
.LBB5_177:                              ;   in Loop: Header=BB5_138 Depth=1
	s_mov_b32 s23, 0
	s_cbranch_execz .LBB5_179
	s_branch .LBB5_180
.LBB5_178:                              ;   in Loop: Header=BB5_138 Depth=1
                                        ; implicit-def: $vgpr23_vgpr24
                                        ; implicit-def: $sgpr23
.LBB5_179:                              ;   in Loop: Header=BB5_138 Depth=1
	global_load_dwordx2 v[23:24], v8, s[4:5]
	s_add_i32 s23, s22, -8
	s_add_u32 s4, s4, 8
	s_addc_u32 s5, s5, 0
.LBB5_180:                              ;   in Loop: Header=BB5_138 Depth=1
	s_cmp_gt_u32 s23, 7
	s_cbranch_scc1 .LBB5_185
; %bb.181:                              ;   in Loop: Header=BB5_138 Depth=1
	v_mov_b32_e32 v25, 0
	v_mov_b32_e32 v26, 0
	s_cmp_eq_u32 s23, 0
	s_cbranch_scc1 .LBB5_184
; %bb.182:                              ;   in Loop: Header=BB5_138 Depth=1
	s_mov_b64 s[18:19], 0
	s_mov_b64 s[20:21], s[4:5]
.LBB5_183:                              ;   Parent Loop BB5_138 Depth=1
                                        ; =>  This Inner Loop Header: Depth=2
	global_load_ubyte v2, v8, s[20:21]
	s_add_i32 s23, s23, -1
	s_waitcnt vmcnt(0)
	v_and_b32_e32 v7, 0xffff, v2
	v_lshlrev_b64 v[2:3], s18, v[7:8]
	s_add_u32 s18, s18, 8
	s_addc_u32 s19, s19, 0
	s_add_u32 s20, s20, 1
	s_addc_u32 s21, s21, 0
	s_cmp_lg_u32 s23, 0
	v_or_b32_e32 v25, v2, v25
	v_or_b32_e32 v26, v3, v26
	s_cbranch_scc1 .LBB5_183
.LBB5_184:                              ;   in Loop: Header=BB5_138 Depth=1
	s_cbranch_execz .LBB5_186
	s_branch .LBB5_187
.LBB5_185:                              ;   in Loop: Header=BB5_138 Depth=1
.LBB5_186:                              ;   in Loop: Header=BB5_138 Depth=1
	global_load_dwordx2 v[25:26], v8, s[4:5]
.LBB5_187:                              ;   in Loop: Header=BB5_138 Depth=1
	v_readfirstlane_b32 s4, v49
	v_mov_b32_e32 v2, 0
	v_mov_b32_e32 v3, 0
	v_cmp_eq_u32_e64 s4, s4, v49
	s_and_saveexec_b32 s5, s4
	s_cbranch_execz .LBB5_193
; %bb.188:                              ;   in Loop: Header=BB5_138 Depth=1
	global_load_dwordx2 v[29:30], v8, s[26:27] offset:24 glc dlc
	s_waitcnt vmcnt(0)
	buffer_gl1_inv
	buffer_gl0_inv
	s_clause 0x1
	global_load_dwordx2 v[2:3], v8, s[26:27] offset:40
	global_load_dwordx2 v[27:28], v8, s[26:27]
	s_mov_b32 s18, exec_lo
	s_waitcnt vmcnt(1)
	v_and_b32_e32 v3, v3, v30
	v_and_b32_e32 v2, v2, v29
	v_mul_lo_u32 v3, v3, 24
	v_mul_hi_u32 v7, v2, 24
	v_mul_lo_u32 v2, v2, 24
	v_add_nc_u32_e32 v3, v7, v3
	s_waitcnt vmcnt(0)
	v_add_co_u32 v2, vcc_lo, v27, v2
	v_add_co_ci_u32_e32 v3, vcc_lo, v28, v3, vcc_lo
	global_load_dwordx2 v[27:28], v[2:3], off glc dlc
	s_waitcnt vmcnt(0)
	global_atomic_cmpswap_x2 v[2:3], v8, v[27:30], s[26:27] offset:24 glc
	s_waitcnt vmcnt(0)
	buffer_gl1_inv
	buffer_gl0_inv
	v_cmpx_ne_u64_e64 v[2:3], v[29:30]
	s_cbranch_execz .LBB5_192
; %bb.189:                              ;   in Loop: Header=BB5_138 Depth=1
	s_mov_b32 s19, 0
	.p2align	6
.LBB5_190:                              ;   Parent Loop BB5_138 Depth=1
                                        ; =>  This Inner Loop Header: Depth=2
	s_sleep 1
	s_clause 0x1
	global_load_dwordx2 v[27:28], v8, s[26:27] offset:40
	global_load_dwordx2 v[31:32], v8, s[26:27]
	v_mov_b32_e32 v30, v3
	v_mov_b32_e32 v29, v2
	s_waitcnt vmcnt(1)
	v_and_b32_e32 v2, v27, v29
	v_and_b32_e32 v7, v28, v30
	s_waitcnt vmcnt(0)
	v_mad_u64_u32 v[2:3], null, v2, 24, v[31:32]
	v_mad_u64_u32 v[27:28], null, v7, 24, v[3:4]
	v_mov_b32_e32 v3, v27
	global_load_dwordx2 v[27:28], v[2:3], off glc dlc
	s_waitcnt vmcnt(0)
	global_atomic_cmpswap_x2 v[2:3], v8, v[27:30], s[26:27] offset:24 glc
	s_waitcnt vmcnt(0)
	buffer_gl1_inv
	buffer_gl0_inv
	v_cmp_eq_u64_e32 vcc_lo, v[2:3], v[29:30]
	s_or_b32 s19, vcc_lo, s19
	s_andn2_b32 exec_lo, exec_lo, s19
	s_cbranch_execnz .LBB5_190
; %bb.191:                              ;   in Loop: Header=BB5_138 Depth=1
	s_or_b32 exec_lo, exec_lo, s19
.LBB5_192:                              ;   in Loop: Header=BB5_138 Depth=1
	s_or_b32 exec_lo, exec_lo, s18
.LBB5_193:                              ;   in Loop: Header=BB5_138 Depth=1
	s_or_b32 exec_lo, exec_lo, s5
	s_clause 0x1
	global_load_dwordx2 v[31:32], v8, s[26:27] offset:40
	global_load_dwordx4 v[27:30], v8, s[26:27]
	v_readfirstlane_b32 s18, v2
	v_readfirstlane_b32 s19, v3
	s_mov_b32 s5, exec_lo
	s_waitcnt vmcnt(1)
	v_readfirstlane_b32 s20, v31
	v_readfirstlane_b32 s21, v32
	s_and_b64 s[20:21], s[18:19], s[20:21]
	s_mul_i32 s22, s21, 24
	s_mul_hi_u32 s23, s20, 24
	s_mul_i32 s24, s20, 24
	s_add_i32 s23, s23, s22
	s_waitcnt vmcnt(0)
	v_add_co_u32 v2, vcc_lo, v27, s24
	v_add_co_ci_u32_e32 v3, vcc_lo, s23, v28, vcc_lo
	s_and_saveexec_b32 s22, s4
	s_cbranch_execz .LBB5_195
; %bb.194:                              ;   in Loop: Header=BB5_138 Depth=1
	v_mov_b32_e32 v7, s5
	global_store_dwordx4 v[2:3], v[7:10], off offset:8
.LBB5_195:                              ;   in Loop: Header=BB5_138 Depth=1
	s_or_b32 exec_lo, exec_lo, s22
	s_lshl_b64 s[20:21], s[20:21], 12
	v_or_b32_e32 v7, 2, v11
	v_add_co_u32 v29, vcc_lo, v29, s20
	v_add_co_ci_u32_e32 v30, vcc_lo, s21, v30, vcc_lo
	v_cmp_gt_u64_e64 vcc_lo, s[10:11], 56
	s_lshl_b32 s5, s16, 2
	v_readfirstlane_b32 s20, v29
	s_add_i32 s5, s5, 28
	v_readfirstlane_b32 s21, v30
	s_and_b32 s5, s5, 0x1e0
	v_cndmask_b32_e32 v7, v7, v11, vcc_lo
	v_and_or_b32 v11, 0xffffff1f, v7, s5
	global_store_dwordx4 v48, v[15:18], s[20:21] offset:16
	global_store_dwordx4 v48, v[11:14], s[20:21]
	global_store_dwordx4 v48, v[19:22], s[20:21] offset:32
	global_store_dwordx4 v48, v[23:26], s[20:21] offset:48
	s_and_saveexec_b32 s5, s4
	s_cbranch_execz .LBB5_203
; %bb.196:                              ;   in Loop: Header=BB5_138 Depth=1
	s_clause 0x1
	global_load_dwordx2 v[19:20], v8, s[26:27] offset:32 glc dlc
	global_load_dwordx2 v[11:12], v8, s[26:27] offset:40
	v_mov_b32_e32 v17, s18
	v_mov_b32_e32 v18, s19
	s_waitcnt vmcnt(0)
	v_readfirstlane_b32 s20, v11
	v_readfirstlane_b32 s21, v12
	s_and_b64 s[20:21], s[20:21], s[18:19]
	s_mul_i32 s21, s21, 24
	s_mul_hi_u32 s22, s20, 24
	s_mul_i32 s20, s20, 24
	s_add_i32 s22, s22, s21
	v_add_co_u32 v15, vcc_lo, v27, s20
	v_add_co_ci_u32_e32 v16, vcc_lo, s22, v28, vcc_lo
	s_mov_b32 s20, exec_lo
	global_store_dwordx2 v[15:16], v[19:20], off
	s_waitcnt_vscnt null, 0x0
	global_atomic_cmpswap_x2 v[13:14], v8, v[17:20], s[26:27] offset:32 glc
	s_waitcnt vmcnt(0)
	v_cmpx_ne_u64_e64 v[13:14], v[19:20]
	s_cbranch_execz .LBB5_199
; %bb.197:                              ;   in Loop: Header=BB5_138 Depth=1
	s_mov_b32 s21, 0
.LBB5_198:                              ;   Parent Loop BB5_138 Depth=1
                                        ; =>  This Inner Loop Header: Depth=2
	v_mov_b32_e32 v11, s18
	v_mov_b32_e32 v12, s19
	s_sleep 1
	global_store_dwordx2 v[15:16], v[13:14], off
	s_waitcnt_vscnt null, 0x0
	global_atomic_cmpswap_x2 v[11:12], v8, v[11:14], s[26:27] offset:32 glc
	s_waitcnt vmcnt(0)
	v_cmp_eq_u64_e32 vcc_lo, v[11:12], v[13:14]
	v_mov_b32_e32 v14, v12
	v_mov_b32_e32 v13, v11
	s_or_b32 s21, vcc_lo, s21
	s_andn2_b32 exec_lo, exec_lo, s21
	s_cbranch_execnz .LBB5_198
.LBB5_199:                              ;   in Loop: Header=BB5_138 Depth=1
	s_or_b32 exec_lo, exec_lo, s20
	global_load_dwordx2 v[11:12], v8, s[26:27] offset:16
	s_mov_b32 s21, exec_lo
	s_mov_b32 s20, exec_lo
	v_mbcnt_lo_u32_b32 v7, s21, 0
	v_cmpx_eq_u32_e32 0, v7
	s_cbranch_execz .LBB5_201
; %bb.200:                              ;   in Loop: Header=BB5_138 Depth=1
	s_bcnt1_i32_b32 s21, s21
	v_mov_b32_e32 v7, s21
	s_waitcnt vmcnt(0)
	global_atomic_add_x2 v[11:12], v[7:8], off offset:8
.LBB5_201:                              ;   in Loop: Header=BB5_138 Depth=1
	s_or_b32 exec_lo, exec_lo, s20
	s_waitcnt vmcnt(0)
	global_load_dwordx2 v[13:14], v[11:12], off offset:16
	s_waitcnt vmcnt(0)
	v_cmp_eq_u64_e32 vcc_lo, 0, v[13:14]
	s_cbranch_vccnz .LBB5_203
; %bb.202:                              ;   in Loop: Header=BB5_138 Depth=1
	global_load_dword v7, v[11:12], off offset:24
	s_waitcnt vmcnt(0)
	v_and_b32_e32 v11, 0x7fffff, v7
	s_waitcnt_vscnt null, 0x0
	global_store_dwordx2 v[13:14], v[7:8], off
	v_readfirstlane_b32 m0, v11
	s_sendmsg sendmsg(MSG_INTERRUPT)
.LBB5_203:                              ;   in Loop: Header=BB5_138 Depth=1
	s_or_b32 exec_lo, exec_lo, s5
	v_add_co_u32 v11, vcc_lo, v29, v48
	v_add_co_ci_u32_e32 v12, vcc_lo, 0, v30, vcc_lo
	s_branch .LBB5_207
	.p2align	6
.LBB5_204:                              ;   in Loop: Header=BB5_207 Depth=2
	s_or_b32 exec_lo, exec_lo, s5
	v_readfirstlane_b32 s5, v7
	s_cmp_eq_u32 s5, 0
	s_cbranch_scc1 .LBB5_206
; %bb.205:                              ;   in Loop: Header=BB5_207 Depth=2
	s_sleep 1
	s_cbranch_execnz .LBB5_207
	s_branch .LBB5_209
	.p2align	6
.LBB5_206:                              ;   in Loop: Header=BB5_138 Depth=1
	s_branch .LBB5_209
.LBB5_207:                              ;   Parent Loop BB5_138 Depth=1
                                        ; =>  This Inner Loop Header: Depth=2
	v_mov_b32_e32 v7, 1
	s_and_saveexec_b32 s5, s4
	s_cbranch_execz .LBB5_204
; %bb.208:                              ;   in Loop: Header=BB5_207 Depth=2
	global_load_dword v7, v[2:3], off offset:20 glc dlc
	s_waitcnt vmcnt(0)
	buffer_gl1_inv
	buffer_gl0_inv
	v_and_b32_e32 v7, 1, v7
	s_branch .LBB5_204
.LBB5_209:                              ;   in Loop: Header=BB5_138 Depth=1
	global_load_dwordx4 v[11:14], v[11:12], off
	s_and_saveexec_b32 s5, s4
	s_cbranch_execz .LBB5_137
; %bb.210:                              ;   in Loop: Header=BB5_138 Depth=1
	s_clause 0x2
	global_load_dwordx2 v[2:3], v8, s[26:27] offset:40
	global_load_dwordx2 v[17:18], v8, s[26:27] offset:24 glc dlc
	global_load_dwordx2 v[15:16], v8, s[26:27]
	s_waitcnt vmcnt(2)
	v_add_co_u32 v7, vcc_lo, v2, 1
	v_add_co_ci_u32_e32 v19, vcc_lo, 0, v3, vcc_lo
	v_add_co_u32 v13, vcc_lo, v7, s18
	v_add_co_ci_u32_e32 v14, vcc_lo, s19, v19, vcc_lo
	v_cmp_eq_u64_e32 vcc_lo, 0, v[13:14]
	v_cndmask_b32_e32 v14, v14, v19, vcc_lo
	v_cndmask_b32_e32 v13, v13, v7, vcc_lo
	v_and_b32_e32 v3, v14, v3
	v_and_b32_e32 v2, v13, v2
	v_mul_lo_u32 v3, v3, 24
	v_mul_hi_u32 v7, v2, 24
	v_mul_lo_u32 v2, v2, 24
	v_add_nc_u32_e32 v3, v7, v3
	s_waitcnt vmcnt(0)
	v_add_co_u32 v2, vcc_lo, v15, v2
	v_mov_b32_e32 v15, v17
	v_add_co_ci_u32_e32 v3, vcc_lo, v16, v3, vcc_lo
	v_mov_b32_e32 v16, v18
	global_store_dwordx2 v[2:3], v[17:18], off
	s_waitcnt_vscnt null, 0x0
	global_atomic_cmpswap_x2 v[15:16], v8, v[13:16], s[26:27] offset:24 glc
	s_waitcnt vmcnt(0)
	v_cmp_ne_u64_e32 vcc_lo, v[15:16], v[17:18]
	s_and_b32 exec_lo, exec_lo, vcc_lo
	s_cbranch_execz .LBB5_137
; %bb.211:                              ;   in Loop: Header=BB5_138 Depth=1
	s_mov_b32 s4, 0
.LBB5_212:                              ;   Parent Loop BB5_138 Depth=1
                                        ; =>  This Inner Loop Header: Depth=2
	s_sleep 1
	global_store_dwordx2 v[2:3], v[15:16], off
	s_waitcnt_vscnt null, 0x0
	global_atomic_cmpswap_x2 v[17:18], v8, v[13:16], s[26:27] offset:24 glc
	s_waitcnt vmcnt(0)
	v_cmp_eq_u64_e32 vcc_lo, v[17:18], v[15:16]
	v_mov_b32_e32 v15, v17
	v_mov_b32_e32 v16, v18
	s_or_b32 s4, vcc_lo, s4
	s_andn2_b32 exec_lo, exec_lo, s4
	s_cbranch_execnz .LBB5_212
	s_branch .LBB5_137
.LBB5_213:
	s_branch .LBB5_242
.LBB5_214:
	s_cbranch_execz .LBB5_242
; %bb.215:
	v_readfirstlane_b32 s4, v49
	s_waitcnt vmcnt(0)
	v_mov_b32_e32 v11, 0
	v_mov_b32_e32 v12, 0
	v_cmp_eq_u32_e64 s4, s4, v49
	s_and_saveexec_b32 s5, s4
	s_cbranch_execz .LBB5_221
; %bb.216:
	v_mov_b32_e32 v2, 0
	s_mov_b32 s6, exec_lo
	global_load_dwordx2 v[9:10], v2, s[26:27] offset:24 glc dlc
	s_waitcnt vmcnt(0)
	buffer_gl1_inv
	buffer_gl0_inv
	s_clause 0x1
	global_load_dwordx2 v[7:8], v2, s[26:27] offset:40
	global_load_dwordx2 v[11:12], v2, s[26:27]
	s_waitcnt vmcnt(1)
	v_and_b32_e32 v3, v8, v10
	v_and_b32_e32 v7, v7, v9
	v_mul_lo_u32 v3, v3, 24
	v_mul_hi_u32 v8, v7, 24
	v_mul_lo_u32 v7, v7, 24
	v_add_nc_u32_e32 v3, v8, v3
	s_waitcnt vmcnt(0)
	v_add_co_u32 v7, vcc_lo, v11, v7
	v_add_co_ci_u32_e32 v8, vcc_lo, v12, v3, vcc_lo
	global_load_dwordx2 v[7:8], v[7:8], off glc dlc
	s_waitcnt vmcnt(0)
	global_atomic_cmpswap_x2 v[11:12], v2, v[7:10], s[26:27] offset:24 glc
	s_waitcnt vmcnt(0)
	buffer_gl1_inv
	buffer_gl0_inv
	v_cmpx_ne_u64_e64 v[11:12], v[9:10]
	s_cbranch_execz .LBB5_220
; %bb.217:
	s_mov_b32 s7, 0
	.p2align	6
.LBB5_218:                              ; =>This Inner Loop Header: Depth=1
	s_sleep 1
	s_clause 0x1
	global_load_dwordx2 v[7:8], v2, s[26:27] offset:40
	global_load_dwordx2 v[13:14], v2, s[26:27]
	v_mov_b32_e32 v9, v11
	v_mov_b32_e32 v10, v12
	s_waitcnt vmcnt(1)
	v_and_b32_e32 v3, v7, v9
	v_and_b32_e32 v7, v8, v10
	s_waitcnt vmcnt(0)
	v_mad_u64_u32 v[11:12], null, v3, 24, v[13:14]
	v_mov_b32_e32 v3, v12
	v_mad_u64_u32 v[7:8], null, v7, 24, v[3:4]
	v_mov_b32_e32 v12, v7
	global_load_dwordx2 v[7:8], v[11:12], off glc dlc
	s_waitcnt vmcnt(0)
	global_atomic_cmpswap_x2 v[11:12], v2, v[7:10], s[26:27] offset:24 glc
	s_waitcnt vmcnt(0)
	buffer_gl1_inv
	buffer_gl0_inv
	v_cmp_eq_u64_e32 vcc_lo, v[11:12], v[9:10]
	s_or_b32 s7, vcc_lo, s7
	s_andn2_b32 exec_lo, exec_lo, s7
	s_cbranch_execnz .LBB5_218
; %bb.219:
	s_or_b32 exec_lo, exec_lo, s7
.LBB5_220:
	s_or_b32 exec_lo, exec_lo, s6
.LBB5_221:
	s_or_b32 exec_lo, exec_lo, s5
	v_mov_b32_e32 v2, 0
	v_readfirstlane_b32 s6, v11
	v_readfirstlane_b32 s7, v12
	s_mov_b32 s5, exec_lo
	s_clause 0x1
	global_load_dwordx2 v[13:14], v2, s[26:27] offset:40
	global_load_dwordx4 v[7:10], v2, s[26:27]
	s_waitcnt vmcnt(1)
	v_readfirstlane_b32 s10, v13
	v_readfirstlane_b32 s11, v14
	s_and_b64 s[10:11], s[6:7], s[10:11]
	s_mul_i32 s16, s11, 24
	s_mul_hi_u32 s17, s10, 24
	s_mul_i32 s18, s10, 24
	s_add_i32 s17, s17, s16
	s_waitcnt vmcnt(0)
	v_add_co_u32 v11, vcc_lo, v7, s18
	v_add_co_ci_u32_e32 v12, vcc_lo, s17, v8, vcc_lo
	s_and_saveexec_b32 s16, s4
	s_cbranch_execz .LBB5_223
; %bb.222:
	v_mov_b32_e32 v13, s5
	v_mov_b32_e32 v14, v2
	;; [unrolled: 1-line block ×4, first 2 shown]
	global_store_dwordx4 v[11:12], v[13:16], off offset:8
.LBB5_223:
	s_or_b32 exec_lo, exec_lo, s16
	s_lshl_b64 s[10:11], s[10:11], 12
	s_mov_b32 s16, 0
	v_add_co_u32 v9, vcc_lo, v9, s10
	v_add_co_ci_u32_e32 v10, vcc_lo, s11, v10, vcc_lo
	s_mov_b32 s17, s16
	s_mov_b32 s18, s16
	;; [unrolled: 1-line block ×3, first 2 shown]
	v_and_or_b32 v0, 0xffffff1d, v0, 34
	v_mov_b32_e32 v3, v2
	v_readfirstlane_b32 s10, v9
	v_readfirstlane_b32 s11, v10
	v_mov_b32_e32 v13, s16
	v_mov_b32_e32 v14, s17
	;; [unrolled: 1-line block ×4, first 2 shown]
	global_store_dwordx4 v48, v[0:3], s[10:11]
	global_store_dwordx4 v48, v[13:16], s[10:11] offset:16
	global_store_dwordx4 v48, v[13:16], s[10:11] offset:32
	;; [unrolled: 1-line block ×3, first 2 shown]
	s_and_saveexec_b32 s5, s4
	s_cbranch_execz .LBB5_231
; %bb.224:
	v_mov_b32_e32 v9, 0
	v_mov_b32_e32 v13, s6
	;; [unrolled: 1-line block ×3, first 2 shown]
	s_clause 0x1
	global_load_dwordx2 v[15:16], v9, s[26:27] offset:32 glc dlc
	global_load_dwordx2 v[0:1], v9, s[26:27] offset:40
	s_waitcnt vmcnt(0)
	v_readfirstlane_b32 s10, v0
	v_readfirstlane_b32 s11, v1
	s_and_b64 s[10:11], s[10:11], s[6:7]
	s_mul_i32 s11, s11, 24
	s_mul_hi_u32 s16, s10, 24
	s_mul_i32 s10, s10, 24
	s_add_i32 s16, s16, s11
	v_add_co_u32 v7, vcc_lo, v7, s10
	v_add_co_ci_u32_e32 v8, vcc_lo, s16, v8, vcc_lo
	s_mov_b32 s10, exec_lo
	global_store_dwordx2 v[7:8], v[15:16], off
	s_waitcnt_vscnt null, 0x0
	global_atomic_cmpswap_x2 v[2:3], v9, v[13:16], s[26:27] offset:32 glc
	s_waitcnt vmcnt(0)
	v_cmpx_ne_u64_e64 v[2:3], v[15:16]
	s_cbranch_execz .LBB5_227
; %bb.225:
	s_mov_b32 s11, 0
.LBB5_226:                              ; =>This Inner Loop Header: Depth=1
	v_mov_b32_e32 v0, s6
	v_mov_b32_e32 v1, s7
	s_sleep 1
	global_store_dwordx2 v[7:8], v[2:3], off
	s_waitcnt_vscnt null, 0x0
	global_atomic_cmpswap_x2 v[0:1], v9, v[0:3], s[26:27] offset:32 glc
	s_waitcnt vmcnt(0)
	v_cmp_eq_u64_e32 vcc_lo, v[0:1], v[2:3]
	v_mov_b32_e32 v3, v1
	v_mov_b32_e32 v2, v0
	s_or_b32 s11, vcc_lo, s11
	s_andn2_b32 exec_lo, exec_lo, s11
	s_cbranch_execnz .LBB5_226
.LBB5_227:
	s_or_b32 exec_lo, exec_lo, s10
	v_mov_b32_e32 v3, 0
	s_mov_b32 s11, exec_lo
	s_mov_b32 s10, exec_lo
	v_mbcnt_lo_u32_b32 v2, s11, 0
	global_load_dwordx2 v[0:1], v3, s[26:27] offset:16
	v_cmpx_eq_u32_e32 0, v2
	s_cbranch_execz .LBB5_229
; %bb.228:
	s_bcnt1_i32_b32 s11, s11
	v_mov_b32_e32 v2, s11
	s_waitcnt vmcnt(0)
	global_atomic_add_x2 v[0:1], v[2:3], off offset:8
.LBB5_229:
	s_or_b32 exec_lo, exec_lo, s10
	s_waitcnt vmcnt(0)
	global_load_dwordx2 v[2:3], v[0:1], off offset:16
	s_waitcnt vmcnt(0)
	v_cmp_eq_u64_e32 vcc_lo, 0, v[2:3]
	s_cbranch_vccnz .LBB5_231
; %bb.230:
	global_load_dword v0, v[0:1], off offset:24
	v_mov_b32_e32 v1, 0
	s_waitcnt vmcnt(0)
	v_and_b32_e32 v7, 0x7fffff, v0
	s_waitcnt_vscnt null, 0x0
	global_store_dwordx2 v[2:3], v[0:1], off
	v_readfirstlane_b32 m0, v7
	s_sendmsg sendmsg(MSG_INTERRUPT)
.LBB5_231:
	s_or_b32 exec_lo, exec_lo, s5
	s_branch .LBB5_235
	.p2align	6
.LBB5_232:                              ;   in Loop: Header=BB5_235 Depth=1
	s_or_b32 exec_lo, exec_lo, s5
	v_readfirstlane_b32 s5, v0
	s_cmp_eq_u32 s5, 0
	s_cbranch_scc1 .LBB5_234
; %bb.233:                              ;   in Loop: Header=BB5_235 Depth=1
	s_sleep 1
	s_cbranch_execnz .LBB5_235
	s_branch .LBB5_237
	.p2align	6
.LBB5_234:
	s_branch .LBB5_237
.LBB5_235:                              ; =>This Inner Loop Header: Depth=1
	v_mov_b32_e32 v0, 1
	s_and_saveexec_b32 s5, s4
	s_cbranch_execz .LBB5_232
; %bb.236:                              ;   in Loop: Header=BB5_235 Depth=1
	global_load_dword v0, v[11:12], off offset:20 glc dlc
	s_waitcnt vmcnt(0)
	buffer_gl1_inv
	buffer_gl0_inv
	v_and_b32_e32 v0, 1, v0
	s_branch .LBB5_232
.LBB5_237:
	s_and_saveexec_b32 s5, s4
	s_cbranch_execz .LBB5_241
; %bb.238:
	v_mov_b32_e32 v9, 0
	s_clause 0x2
	global_load_dwordx2 v[2:3], v9, s[26:27] offset:40
	global_load_dwordx2 v[10:11], v9, s[26:27] offset:24 glc dlc
	global_load_dwordx2 v[7:8], v9, s[26:27]
	s_waitcnt vmcnt(2)
	v_add_co_u32 v12, vcc_lo, v2, 1
	v_add_co_ci_u32_e32 v13, vcc_lo, 0, v3, vcc_lo
	v_add_co_u32 v0, vcc_lo, v12, s6
	v_add_co_ci_u32_e32 v1, vcc_lo, s7, v13, vcc_lo
	v_cmp_eq_u64_e32 vcc_lo, 0, v[0:1]
	v_cndmask_b32_e32 v1, v1, v13, vcc_lo
	v_cndmask_b32_e32 v0, v0, v12, vcc_lo
	v_and_b32_e32 v3, v1, v3
	v_and_b32_e32 v2, v0, v2
	v_mul_lo_u32 v3, v3, 24
	v_mul_hi_u32 v12, v2, 24
	v_mul_lo_u32 v2, v2, 24
	v_add_nc_u32_e32 v3, v12, v3
	s_waitcnt vmcnt(0)
	v_add_co_u32 v7, vcc_lo, v7, v2
	v_mov_b32_e32 v2, v10
	v_add_co_ci_u32_e32 v8, vcc_lo, v8, v3, vcc_lo
	v_mov_b32_e32 v3, v11
	global_store_dwordx2 v[7:8], v[10:11], off
	s_waitcnt_vscnt null, 0x0
	global_atomic_cmpswap_x2 v[2:3], v9, v[0:3], s[26:27] offset:24 glc
	s_waitcnt vmcnt(0)
	v_cmp_ne_u64_e32 vcc_lo, v[2:3], v[10:11]
	s_and_b32 exec_lo, exec_lo, vcc_lo
	s_cbranch_execz .LBB5_241
; %bb.239:
	s_mov_b32 s4, 0
.LBB5_240:                              ; =>This Inner Loop Header: Depth=1
	s_sleep 1
	global_store_dwordx2 v[7:8], v[2:3], off
	s_waitcnt_vscnt null, 0x0
	global_atomic_cmpswap_x2 v[10:11], v9, v[0:3], s[26:27] offset:24 glc
	s_waitcnt vmcnt(0)
	v_cmp_eq_u64_e32 vcc_lo, v[10:11], v[2:3]
	v_mov_b32_e32 v2, v10
	v_mov_b32_e32 v3, v11
	s_or_b32 s4, vcc_lo, s4
	s_andn2_b32 exec_lo, exec_lo, s4
	s_cbranch_execnz .LBB5_240
.LBB5_241:
	s_or_b32 exec_lo, exec_lo, s5
.LBB5_242:
	v_readfirstlane_b32 s4, v49
	v_mov_b32_e32 v9, 0
	v_mov_b32_e32 v10, 0
	v_cmp_eq_u32_e64 s4, s4, v49
	s_and_saveexec_b32 s5, s4
	s_cbranch_execz .LBB5_248
; %bb.243:
	s_waitcnt vmcnt(0)
	v_mov_b32_e32 v0, 0
	s_mov_b32 s6, exec_lo
	global_load_dwordx2 v[11:12], v0, s[26:27] offset:24 glc dlc
	s_waitcnt vmcnt(0)
	buffer_gl1_inv
	buffer_gl0_inv
	s_clause 0x1
	global_load_dwordx2 v[1:2], v0, s[26:27] offset:40
	global_load_dwordx2 v[7:8], v0, s[26:27]
	s_waitcnt vmcnt(1)
	v_and_b32_e32 v2, v2, v12
	v_and_b32_e32 v1, v1, v11
	v_mul_lo_u32 v2, v2, 24
	v_mul_hi_u32 v3, v1, 24
	v_mul_lo_u32 v1, v1, 24
	v_add_nc_u32_e32 v2, v3, v2
	s_waitcnt vmcnt(0)
	v_add_co_u32 v1, vcc_lo, v7, v1
	v_add_co_ci_u32_e32 v2, vcc_lo, v8, v2, vcc_lo
	global_load_dwordx2 v[9:10], v[1:2], off glc dlc
	s_waitcnt vmcnt(0)
	global_atomic_cmpswap_x2 v[9:10], v0, v[9:12], s[26:27] offset:24 glc
	s_waitcnt vmcnt(0)
	buffer_gl1_inv
	buffer_gl0_inv
	v_cmpx_ne_u64_e64 v[9:10], v[11:12]
	s_cbranch_execz .LBB5_247
; %bb.244:
	s_mov_b32 s7, 0
	.p2align	6
.LBB5_245:                              ; =>This Inner Loop Header: Depth=1
	s_sleep 1
	s_clause 0x1
	global_load_dwordx2 v[1:2], v0, s[26:27] offset:40
	global_load_dwordx2 v[7:8], v0, s[26:27]
	v_mov_b32_e32 v12, v10
	v_mov_b32_e32 v11, v9
	s_waitcnt vmcnt(1)
	v_and_b32_e32 v1, v1, v11
	v_and_b32_e32 v2, v2, v12
	s_waitcnt vmcnt(0)
	v_mad_u64_u32 v[7:8], null, v1, 24, v[7:8]
	v_mov_b32_e32 v1, v8
	v_mad_u64_u32 v[1:2], null, v2, 24, v[1:2]
	v_mov_b32_e32 v8, v1
	global_load_dwordx2 v[9:10], v[7:8], off glc dlc
	s_waitcnt vmcnt(0)
	global_atomic_cmpswap_x2 v[9:10], v0, v[9:12], s[26:27] offset:24 glc
	s_waitcnt vmcnt(0)
	buffer_gl1_inv
	buffer_gl0_inv
	v_cmp_eq_u64_e32 vcc_lo, v[9:10], v[11:12]
	s_or_b32 s7, vcc_lo, s7
	s_andn2_b32 exec_lo, exec_lo, s7
	s_cbranch_execnz .LBB5_245
; %bb.246:
	s_or_b32 exec_lo, exec_lo, s7
.LBB5_247:
	s_or_b32 exec_lo, exec_lo, s6
.LBB5_248:
	s_or_b32 exec_lo, exec_lo, s5
	s_waitcnt vmcnt(0)
	v_mov_b32_e32 v8, 0
	v_readfirstlane_b32 s6, v9
	v_readfirstlane_b32 s7, v10
	s_mov_b32 s5, exec_lo
	s_clause 0x1
	global_load_dwordx2 v[11:12], v8, s[26:27] offset:40
	global_load_dwordx4 v[0:3], v8, s[26:27]
	s_waitcnt vmcnt(1)
	v_readfirstlane_b32 s10, v11
	v_readfirstlane_b32 s11, v12
	s_and_b64 s[10:11], s[6:7], s[10:11]
	s_mul_i32 s16, s11, 24
	s_mul_hi_u32 s17, s10, 24
	s_mul_i32 s18, s10, 24
	s_add_i32 s17, s17, s16
	s_waitcnt vmcnt(0)
	v_add_co_u32 v11, vcc_lo, v0, s18
	v_add_co_ci_u32_e32 v12, vcc_lo, s17, v1, vcc_lo
	s_and_saveexec_b32 s16, s4
	s_cbranch_execz .LBB5_250
; %bb.249:
	v_mov_b32_e32 v7, s5
	v_mov_b32_e32 v9, 2
	;; [unrolled: 1-line block ×3, first 2 shown]
	global_store_dwordx4 v[11:12], v[7:10], off offset:8
.LBB5_250:
	s_or_b32 exec_lo, exec_lo, s16
	s_lshl_b64 s[10:11], s[10:11], 12
	s_mov_b32 s16, 0
	v_add_co_u32 v2, vcc_lo, v2, s10
	v_add_co_ci_u32_e32 v3, vcc_lo, s11, v3, vcc_lo
	s_mov_b32 s17, s16
	v_add_co_u32 v13, vcc_lo, v2, v48
	s_mov_b32 s18, s16
	s_mov_b32 s19, s16
	v_mov_b32_e32 v7, 33
	v_mov_b32_e32 v9, v8
	;; [unrolled: 1-line block ×3, first 2 shown]
	v_readfirstlane_b32 s10, v2
	v_readfirstlane_b32 s11, v3
	v_mov_b32_e32 v15, s16
	v_add_co_ci_u32_e32 v14, vcc_lo, 0, v3, vcc_lo
	v_mov_b32_e32 v16, s17
	v_mov_b32_e32 v17, s18
	v_mov_b32_e32 v18, s19
	global_store_dwordx4 v48, v[7:10], s[10:11]
	global_store_dwordx4 v48, v[15:18], s[10:11] offset:16
	global_store_dwordx4 v48, v[15:18], s[10:11] offset:32
	;; [unrolled: 1-line block ×3, first 2 shown]
	s_and_saveexec_b32 s5, s4
	s_cbranch_execz .LBB5_258
; %bb.251:
	v_mov_b32_e32 v9, 0
	v_mov_b32_e32 v15, s6
	;; [unrolled: 1-line block ×3, first 2 shown]
	s_clause 0x1
	global_load_dwordx2 v[17:18], v9, s[26:27] offset:32 glc dlc
	global_load_dwordx2 v[2:3], v9, s[26:27] offset:40
	s_waitcnt vmcnt(0)
	v_readfirstlane_b32 s10, v2
	v_readfirstlane_b32 s11, v3
	s_and_b64 s[10:11], s[10:11], s[6:7]
	s_mul_i32 s11, s11, 24
	s_mul_hi_u32 s16, s10, 24
	s_mul_i32 s10, s10, 24
	s_add_i32 s16, s16, s11
	v_add_co_u32 v7, vcc_lo, v0, s10
	v_add_co_ci_u32_e32 v8, vcc_lo, s16, v1, vcc_lo
	s_mov_b32 s10, exec_lo
	global_store_dwordx2 v[7:8], v[17:18], off
	s_waitcnt_vscnt null, 0x0
	global_atomic_cmpswap_x2 v[2:3], v9, v[15:18], s[26:27] offset:32 glc
	s_waitcnt vmcnt(0)
	v_cmpx_ne_u64_e64 v[2:3], v[17:18]
	s_cbranch_execz .LBB5_254
; %bb.252:
	s_mov_b32 s11, 0
.LBB5_253:                              ; =>This Inner Loop Header: Depth=1
	v_mov_b32_e32 v0, s6
	v_mov_b32_e32 v1, s7
	s_sleep 1
	global_store_dwordx2 v[7:8], v[2:3], off
	s_waitcnt_vscnt null, 0x0
	global_atomic_cmpswap_x2 v[0:1], v9, v[0:3], s[26:27] offset:32 glc
	s_waitcnt vmcnt(0)
	v_cmp_eq_u64_e32 vcc_lo, v[0:1], v[2:3]
	v_mov_b32_e32 v3, v1
	v_mov_b32_e32 v2, v0
	s_or_b32 s11, vcc_lo, s11
	s_andn2_b32 exec_lo, exec_lo, s11
	s_cbranch_execnz .LBB5_253
.LBB5_254:
	s_or_b32 exec_lo, exec_lo, s10
	v_mov_b32_e32 v3, 0
	s_mov_b32 s11, exec_lo
	s_mov_b32 s10, exec_lo
	v_mbcnt_lo_u32_b32 v2, s11, 0
	global_load_dwordx2 v[0:1], v3, s[26:27] offset:16
	v_cmpx_eq_u32_e32 0, v2
	s_cbranch_execz .LBB5_256
; %bb.255:
	s_bcnt1_i32_b32 s11, s11
	v_mov_b32_e32 v2, s11
	s_waitcnt vmcnt(0)
	global_atomic_add_x2 v[0:1], v[2:3], off offset:8
.LBB5_256:
	s_or_b32 exec_lo, exec_lo, s10
	s_waitcnt vmcnt(0)
	global_load_dwordx2 v[2:3], v[0:1], off offset:16
	s_waitcnt vmcnt(0)
	v_cmp_eq_u64_e32 vcc_lo, 0, v[2:3]
	s_cbranch_vccnz .LBB5_258
; %bb.257:
	global_load_dword v0, v[0:1], off offset:24
	v_mov_b32_e32 v1, 0
	s_waitcnt vmcnt(0)
	v_and_b32_e32 v7, 0x7fffff, v0
	s_waitcnt_vscnt null, 0x0
	global_store_dwordx2 v[2:3], v[0:1], off
	v_readfirstlane_b32 m0, v7
	s_sendmsg sendmsg(MSG_INTERRUPT)
.LBB5_258:
	s_or_b32 exec_lo, exec_lo, s5
	s_branch .LBB5_262
	.p2align	6
.LBB5_259:                              ;   in Loop: Header=BB5_262 Depth=1
	s_or_b32 exec_lo, exec_lo, s5
	v_readfirstlane_b32 s5, v0
	s_cmp_eq_u32 s5, 0
	s_cbranch_scc1 .LBB5_261
; %bb.260:                              ;   in Loop: Header=BB5_262 Depth=1
	s_sleep 1
	s_cbranch_execnz .LBB5_262
	s_branch .LBB5_264
	.p2align	6
.LBB5_261:
	s_branch .LBB5_264
.LBB5_262:                              ; =>This Inner Loop Header: Depth=1
	v_mov_b32_e32 v0, 1
	s_and_saveexec_b32 s5, s4
	s_cbranch_execz .LBB5_259
; %bb.263:                              ;   in Loop: Header=BB5_262 Depth=1
	global_load_dword v0, v[11:12], off offset:20 glc dlc
	s_waitcnt vmcnt(0)
	buffer_gl1_inv
	buffer_gl0_inv
	v_and_b32_e32 v0, 1, v0
	s_branch .LBB5_259
.LBB5_264:
	global_load_dwordx2 v[0:1], v[13:14], off
	s_and_saveexec_b32 s5, s4
	s_cbranch_execz .LBB5_268
; %bb.265:
	v_mov_b32_e32 v11, 0
	s_clause 0x2
	global_load_dwordx2 v[2:3], v11, s[26:27] offset:40
	global_load_dwordx2 v[12:13], v11, s[26:27] offset:24 glc dlc
	global_load_dwordx2 v[9:10], v11, s[26:27]
	s_waitcnt vmcnt(2)
	v_add_co_u32 v14, vcc_lo, v2, 1
	v_add_co_ci_u32_e32 v15, vcc_lo, 0, v3, vcc_lo
	v_add_co_u32 v7, vcc_lo, v14, s6
	v_add_co_ci_u32_e32 v8, vcc_lo, s7, v15, vcc_lo
	v_cmp_eq_u64_e32 vcc_lo, 0, v[7:8]
	v_cndmask_b32_e32 v8, v8, v15, vcc_lo
	v_cndmask_b32_e32 v7, v7, v14, vcc_lo
	v_and_b32_e32 v3, v8, v3
	v_and_b32_e32 v2, v7, v2
	v_mul_lo_u32 v3, v3, 24
	v_mul_hi_u32 v14, v2, 24
	v_mul_lo_u32 v2, v2, 24
	v_add_nc_u32_e32 v3, v14, v3
	s_waitcnt vmcnt(0)
	v_add_co_u32 v2, vcc_lo, v9, v2
	v_mov_b32_e32 v9, v12
	v_add_co_ci_u32_e32 v3, vcc_lo, v10, v3, vcc_lo
	v_mov_b32_e32 v10, v13
	global_store_dwordx2 v[2:3], v[12:13], off
	s_waitcnt_vscnt null, 0x0
	global_atomic_cmpswap_x2 v[9:10], v11, v[7:10], s[26:27] offset:24 glc
	s_waitcnt vmcnt(0)
	v_cmp_ne_u64_e32 vcc_lo, v[9:10], v[12:13]
	s_and_b32 exec_lo, exec_lo, vcc_lo
	s_cbranch_execz .LBB5_268
; %bb.266:
	s_mov_b32 s4, 0
.LBB5_267:                              ; =>This Inner Loop Header: Depth=1
	s_sleep 1
	global_store_dwordx2 v[2:3], v[9:10], off
	s_waitcnt_vscnt null, 0x0
	global_atomic_cmpswap_x2 v[12:13], v11, v[7:10], s[26:27] offset:24 glc
	s_waitcnt vmcnt(0)
	v_cmp_eq_u64_e32 vcc_lo, v[12:13], v[9:10]
	v_mov_b32_e32 v9, v12
	v_mov_b32_e32 v10, v13
	s_or_b32 s4, vcc_lo, s4
	s_andn2_b32 exec_lo, exec_lo, s4
	s_cbranch_execnz .LBB5_267
.LBB5_268:
	s_or_b32 exec_lo, exec_lo, s5
	s_getpc_b64 s[6:7]
	s_add_u32 s6, s6, .str.9@rel32@lo+4
	s_addc_u32 s7, s7, .str.9@rel32@hi+12
	s_cmp_lg_u64 s[6:7], 0
	s_cselect_b32 s34, -1, 0
	s_and_b32 vcc_lo, exec_lo, s34
	s_cbranch_vccz .LBB5_347
; %bb.269:
	s_waitcnt vmcnt(0)
	v_and_b32_e32 v34, 2, v0
	v_mov_b32_e32 v11, 0
	v_and_b32_e32 v7, -3, v0
	v_mov_b32_e32 v8, v1
	v_mov_b32_e32 v12, 2
	;; [unrolled: 1-line block ×3, first 2 shown]
	s_mov_b64 s[10:11], 3
	s_branch .LBB5_271
.LBB5_270:                              ;   in Loop: Header=BB5_271 Depth=1
	s_or_b32 exec_lo, exec_lo, s5
	s_sub_u32 s10, s10, s16
	s_subb_u32 s11, s11, s17
	s_add_u32 s6, s6, s16
	s_addc_u32 s7, s7, s17
	s_cmp_lg_u64 s[10:11], 0
	s_cbranch_scc0 .LBB5_346
.LBB5_271:                              ; =>This Loop Header: Depth=1
                                        ;     Child Loop BB5_280 Depth 2
                                        ;     Child Loop BB5_276 Depth 2
	;; [unrolled: 1-line block ×11, first 2 shown]
	v_cmp_lt_u64_e64 s4, s[10:11], 56
	v_cmp_gt_u64_e64 s5, s[10:11], 7
                                        ; implicit-def: $vgpr16_vgpr17
                                        ; implicit-def: $sgpr22
	s_and_b32 s4, s4, exec_lo
	s_cselect_b32 s17, s11, 0
	s_cselect_b32 s16, s10, 56
	s_and_b32 vcc_lo, exec_lo, s5
	s_mov_b32 s4, -1
	s_cbranch_vccz .LBB5_278
; %bb.272:                              ;   in Loop: Header=BB5_271 Depth=1
	s_andn2_b32 vcc_lo, exec_lo, s4
	s_mov_b64 s[4:5], s[6:7]
	s_cbranch_vccz .LBB5_282
.LBB5_273:                              ;   in Loop: Header=BB5_271 Depth=1
	s_cmp_gt_u32 s22, 7
	s_cbranch_scc1 .LBB5_283
.LBB5_274:                              ;   in Loop: Header=BB5_271 Depth=1
	v_mov_b32_e32 v18, 0
	v_mov_b32_e32 v19, 0
	s_cmp_eq_u32 s22, 0
	s_cbranch_scc1 .LBB5_277
; %bb.275:                              ;   in Loop: Header=BB5_271 Depth=1
	s_mov_b64 s[18:19], 0
	s_mov_b64 s[20:21], 0
.LBB5_276:                              ;   Parent Loop BB5_271 Depth=1
                                        ; =>  This Inner Loop Header: Depth=2
	s_add_u32 s24, s4, s20
	s_addc_u32 s25, s5, s21
	s_add_u32 s20, s20, 1
	global_load_ubyte v2, v11, s[24:25]
	s_addc_u32 s21, s21, 0
	s_waitcnt vmcnt(0)
	v_and_b32_e32 v10, 0xffff, v2
	v_lshlrev_b64 v[2:3], s18, v[10:11]
	s_add_u32 s18, s18, 8
	s_addc_u32 s19, s19, 0
	s_cmp_lg_u32 s22, s20
	v_or_b32_e32 v18, v2, v18
	v_or_b32_e32 v19, v3, v19
	s_cbranch_scc1 .LBB5_276
.LBB5_277:                              ;   in Loop: Header=BB5_271 Depth=1
	s_mov_b32 s23, 0
	s_cbranch_execz .LBB5_284
	s_branch .LBB5_285
.LBB5_278:                              ;   in Loop: Header=BB5_271 Depth=1
	v_mov_b32_e32 v16, 0
	v_mov_b32_e32 v17, 0
	s_cmp_eq_u64 s[10:11], 0
	s_mov_b64 s[4:5], 0
	s_cbranch_scc1 .LBB5_281
; %bb.279:                              ;   in Loop: Header=BB5_271 Depth=1
	v_mov_b32_e32 v16, 0
	v_mov_b32_e32 v17, 0
	s_lshl_b64 s[18:19], s[16:17], 3
	s_mov_b64 s[20:21], s[6:7]
.LBB5_280:                              ;   Parent Loop BB5_271 Depth=1
                                        ; =>  This Inner Loop Header: Depth=2
	global_load_ubyte v2, v11, s[20:21]
	s_waitcnt vmcnt(0)
	v_and_b32_e32 v10, 0xffff, v2
	v_lshlrev_b64 v[2:3], s4, v[10:11]
	s_add_u32 s4, s4, 8
	s_addc_u32 s5, s5, 0
	s_add_u32 s20, s20, 1
	s_addc_u32 s21, s21, 0
	s_cmp_lg_u32 s18, s4
	v_or_b32_e32 v16, v2, v16
	v_or_b32_e32 v17, v3, v17
	s_cbranch_scc1 .LBB5_280
.LBB5_281:                              ;   in Loop: Header=BB5_271 Depth=1
	s_mov_b32 s22, 0
	s_mov_b64 s[4:5], s[6:7]
	s_cbranch_execnz .LBB5_273
.LBB5_282:                              ;   in Loop: Header=BB5_271 Depth=1
	global_load_dwordx2 v[16:17], v11, s[6:7]
	s_add_i32 s22, s16, -8
	s_add_u32 s4, s6, 8
	s_addc_u32 s5, s7, 0
	s_cmp_gt_u32 s22, 7
	s_cbranch_scc0 .LBB5_274
.LBB5_283:                              ;   in Loop: Header=BB5_271 Depth=1
                                        ; implicit-def: $vgpr18_vgpr19
                                        ; implicit-def: $sgpr23
.LBB5_284:                              ;   in Loop: Header=BB5_271 Depth=1
	global_load_dwordx2 v[18:19], v11, s[4:5]
	s_add_i32 s23, s22, -8
	s_add_u32 s4, s4, 8
	s_addc_u32 s5, s5, 0
.LBB5_285:                              ;   in Loop: Header=BB5_271 Depth=1
	s_cmp_gt_u32 s23, 7
	s_cbranch_scc1 .LBB5_290
; %bb.286:                              ;   in Loop: Header=BB5_271 Depth=1
	v_mov_b32_e32 v20, 0
	v_mov_b32_e32 v21, 0
	s_cmp_eq_u32 s23, 0
	s_cbranch_scc1 .LBB5_289
; %bb.287:                              ;   in Loop: Header=BB5_271 Depth=1
	s_mov_b64 s[18:19], 0
	s_mov_b64 s[20:21], 0
.LBB5_288:                              ;   Parent Loop BB5_271 Depth=1
                                        ; =>  This Inner Loop Header: Depth=2
	s_add_u32 s24, s4, s20
	s_addc_u32 s25, s5, s21
	s_add_u32 s20, s20, 1
	global_load_ubyte v2, v11, s[24:25]
	s_addc_u32 s21, s21, 0
	s_waitcnt vmcnt(0)
	v_and_b32_e32 v10, 0xffff, v2
	v_lshlrev_b64 v[2:3], s18, v[10:11]
	s_add_u32 s18, s18, 8
	s_addc_u32 s19, s19, 0
	s_cmp_lg_u32 s23, s20
	v_or_b32_e32 v20, v2, v20
	v_or_b32_e32 v21, v3, v21
	s_cbranch_scc1 .LBB5_288
.LBB5_289:                              ;   in Loop: Header=BB5_271 Depth=1
	s_mov_b32 s22, 0
	s_cbranch_execz .LBB5_291
	s_branch .LBB5_292
.LBB5_290:                              ;   in Loop: Header=BB5_271 Depth=1
                                        ; implicit-def: $sgpr22
.LBB5_291:                              ;   in Loop: Header=BB5_271 Depth=1
	global_load_dwordx2 v[20:21], v11, s[4:5]
	s_add_i32 s22, s23, -8
	s_add_u32 s4, s4, 8
	s_addc_u32 s5, s5, 0
.LBB5_292:                              ;   in Loop: Header=BB5_271 Depth=1
	s_cmp_gt_u32 s22, 7
	s_cbranch_scc1 .LBB5_297
; %bb.293:                              ;   in Loop: Header=BB5_271 Depth=1
	v_mov_b32_e32 v22, 0
	v_mov_b32_e32 v23, 0
	s_cmp_eq_u32 s22, 0
	s_cbranch_scc1 .LBB5_296
; %bb.294:                              ;   in Loop: Header=BB5_271 Depth=1
	s_mov_b64 s[18:19], 0
	s_mov_b64 s[20:21], 0
.LBB5_295:                              ;   Parent Loop BB5_271 Depth=1
                                        ; =>  This Inner Loop Header: Depth=2
	s_add_u32 s24, s4, s20
	s_addc_u32 s25, s5, s21
	s_add_u32 s20, s20, 1
	global_load_ubyte v2, v11, s[24:25]
	s_addc_u32 s21, s21, 0
	s_waitcnt vmcnt(0)
	v_and_b32_e32 v10, 0xffff, v2
	v_lshlrev_b64 v[2:3], s18, v[10:11]
	s_add_u32 s18, s18, 8
	s_addc_u32 s19, s19, 0
	s_cmp_lg_u32 s22, s20
	v_or_b32_e32 v22, v2, v22
	v_or_b32_e32 v23, v3, v23
	s_cbranch_scc1 .LBB5_295
.LBB5_296:                              ;   in Loop: Header=BB5_271 Depth=1
	s_mov_b32 s23, 0
	s_cbranch_execz .LBB5_298
	s_branch .LBB5_299
.LBB5_297:                              ;   in Loop: Header=BB5_271 Depth=1
                                        ; implicit-def: $vgpr22_vgpr23
                                        ; implicit-def: $sgpr23
.LBB5_298:                              ;   in Loop: Header=BB5_271 Depth=1
	global_load_dwordx2 v[22:23], v11, s[4:5]
	s_add_i32 s23, s22, -8
	s_add_u32 s4, s4, 8
	s_addc_u32 s5, s5, 0
.LBB5_299:                              ;   in Loop: Header=BB5_271 Depth=1
	s_cmp_gt_u32 s23, 7
	s_cbranch_scc1 .LBB5_304
; %bb.300:                              ;   in Loop: Header=BB5_271 Depth=1
	v_mov_b32_e32 v24, 0
	v_mov_b32_e32 v25, 0
	s_cmp_eq_u32 s23, 0
	s_cbranch_scc1 .LBB5_303
; %bb.301:                              ;   in Loop: Header=BB5_271 Depth=1
	s_mov_b64 s[18:19], 0
	s_mov_b64 s[20:21], 0
.LBB5_302:                              ;   Parent Loop BB5_271 Depth=1
                                        ; =>  This Inner Loop Header: Depth=2
	s_add_u32 s24, s4, s20
	s_addc_u32 s25, s5, s21
	s_add_u32 s20, s20, 1
	global_load_ubyte v2, v11, s[24:25]
	s_addc_u32 s21, s21, 0
	s_waitcnt vmcnt(0)
	v_and_b32_e32 v10, 0xffff, v2
	v_lshlrev_b64 v[2:3], s18, v[10:11]
	s_add_u32 s18, s18, 8
	s_addc_u32 s19, s19, 0
	s_cmp_lg_u32 s23, s20
	v_or_b32_e32 v24, v2, v24
	v_or_b32_e32 v25, v3, v25
	s_cbranch_scc1 .LBB5_302
.LBB5_303:                              ;   in Loop: Header=BB5_271 Depth=1
	s_mov_b32 s22, 0
	s_cbranch_execz .LBB5_305
	s_branch .LBB5_306
.LBB5_304:                              ;   in Loop: Header=BB5_271 Depth=1
                                        ; implicit-def: $sgpr22
.LBB5_305:                              ;   in Loop: Header=BB5_271 Depth=1
	global_load_dwordx2 v[24:25], v11, s[4:5]
	s_add_i32 s22, s23, -8
	s_add_u32 s4, s4, 8
	s_addc_u32 s5, s5, 0
.LBB5_306:                              ;   in Loop: Header=BB5_271 Depth=1
	s_cmp_gt_u32 s22, 7
	s_cbranch_scc1 .LBB5_311
; %bb.307:                              ;   in Loop: Header=BB5_271 Depth=1
	v_mov_b32_e32 v26, 0
	v_mov_b32_e32 v27, 0
	s_cmp_eq_u32 s22, 0
	s_cbranch_scc1 .LBB5_310
; %bb.308:                              ;   in Loop: Header=BB5_271 Depth=1
	s_mov_b64 s[18:19], 0
	s_mov_b64 s[20:21], 0
.LBB5_309:                              ;   Parent Loop BB5_271 Depth=1
                                        ; =>  This Inner Loop Header: Depth=2
	s_add_u32 s24, s4, s20
	s_addc_u32 s25, s5, s21
	s_add_u32 s20, s20, 1
	global_load_ubyte v2, v11, s[24:25]
	s_addc_u32 s21, s21, 0
	s_waitcnt vmcnt(0)
	v_and_b32_e32 v10, 0xffff, v2
	v_lshlrev_b64 v[2:3], s18, v[10:11]
	s_add_u32 s18, s18, 8
	s_addc_u32 s19, s19, 0
	s_cmp_lg_u32 s22, s20
	v_or_b32_e32 v26, v2, v26
	v_or_b32_e32 v27, v3, v27
	s_cbranch_scc1 .LBB5_309
.LBB5_310:                              ;   in Loop: Header=BB5_271 Depth=1
	s_mov_b32 s23, 0
	s_cbranch_execz .LBB5_312
	s_branch .LBB5_313
.LBB5_311:                              ;   in Loop: Header=BB5_271 Depth=1
                                        ; implicit-def: $vgpr26_vgpr27
                                        ; implicit-def: $sgpr23
.LBB5_312:                              ;   in Loop: Header=BB5_271 Depth=1
	global_load_dwordx2 v[26:27], v11, s[4:5]
	s_add_i32 s23, s22, -8
	s_add_u32 s4, s4, 8
	s_addc_u32 s5, s5, 0
.LBB5_313:                              ;   in Loop: Header=BB5_271 Depth=1
	s_cmp_gt_u32 s23, 7
	s_cbranch_scc1 .LBB5_318
; %bb.314:                              ;   in Loop: Header=BB5_271 Depth=1
	v_mov_b32_e32 v28, 0
	v_mov_b32_e32 v29, 0
	s_cmp_eq_u32 s23, 0
	s_cbranch_scc1 .LBB5_317
; %bb.315:                              ;   in Loop: Header=BB5_271 Depth=1
	s_mov_b64 s[18:19], 0
	s_mov_b64 s[20:21], s[4:5]
.LBB5_316:                              ;   Parent Loop BB5_271 Depth=1
                                        ; =>  This Inner Loop Header: Depth=2
	global_load_ubyte v2, v11, s[20:21]
	s_add_i32 s23, s23, -1
	s_waitcnt vmcnt(0)
	v_and_b32_e32 v10, 0xffff, v2
	v_lshlrev_b64 v[2:3], s18, v[10:11]
	s_add_u32 s18, s18, 8
	s_addc_u32 s19, s19, 0
	s_add_u32 s20, s20, 1
	s_addc_u32 s21, s21, 0
	s_cmp_lg_u32 s23, 0
	v_or_b32_e32 v28, v2, v28
	v_or_b32_e32 v29, v3, v29
	s_cbranch_scc1 .LBB5_316
.LBB5_317:                              ;   in Loop: Header=BB5_271 Depth=1
	s_cbranch_execz .LBB5_319
	s_branch .LBB5_320
.LBB5_318:                              ;   in Loop: Header=BB5_271 Depth=1
.LBB5_319:                              ;   in Loop: Header=BB5_271 Depth=1
	global_load_dwordx2 v[28:29], v11, s[4:5]
.LBB5_320:                              ;   in Loop: Header=BB5_271 Depth=1
	v_readfirstlane_b32 s4, v49
	v_mov_b32_e32 v2, 0
	v_mov_b32_e32 v3, 0
	v_cmp_eq_u32_e64 s4, s4, v49
	s_and_saveexec_b32 s5, s4
	s_cbranch_execz .LBB5_326
; %bb.321:                              ;   in Loop: Header=BB5_271 Depth=1
	global_load_dwordx2 v[32:33], v11, s[26:27] offset:24 glc dlc
	s_waitcnt vmcnt(0)
	buffer_gl1_inv
	buffer_gl0_inv
	s_clause 0x1
	global_load_dwordx2 v[2:3], v11, s[26:27] offset:40
	global_load_dwordx2 v[9:10], v11, s[26:27]
	s_mov_b32 s18, exec_lo
	s_waitcnt vmcnt(1)
	v_and_b32_e32 v3, v3, v33
	v_and_b32_e32 v2, v2, v32
	v_mul_lo_u32 v3, v3, 24
	v_mul_hi_u32 v14, v2, 24
	v_mul_lo_u32 v2, v2, 24
	v_add_nc_u32_e32 v3, v14, v3
	s_waitcnt vmcnt(0)
	v_add_co_u32 v2, vcc_lo, v9, v2
	v_add_co_ci_u32_e32 v3, vcc_lo, v10, v3, vcc_lo
	global_load_dwordx2 v[30:31], v[2:3], off glc dlc
	s_waitcnt vmcnt(0)
	global_atomic_cmpswap_x2 v[2:3], v11, v[30:33], s[26:27] offset:24 glc
	s_waitcnt vmcnt(0)
	buffer_gl1_inv
	buffer_gl0_inv
	v_cmpx_ne_u64_e64 v[2:3], v[32:33]
	s_cbranch_execz .LBB5_325
; %bb.322:                              ;   in Loop: Header=BB5_271 Depth=1
	s_mov_b32 s19, 0
	.p2align	6
.LBB5_323:                              ;   Parent Loop BB5_271 Depth=1
                                        ; =>  This Inner Loop Header: Depth=2
	s_sleep 1
	s_clause 0x1
	global_load_dwordx2 v[9:10], v11, s[26:27] offset:40
	global_load_dwordx2 v[14:15], v11, s[26:27]
	v_mov_b32_e32 v33, v3
	v_mov_b32_e32 v32, v2
	s_waitcnt vmcnt(1)
	v_and_b32_e32 v2, v9, v32
	v_and_b32_e32 v9, v10, v33
	s_waitcnt vmcnt(0)
	v_mad_u64_u32 v[2:3], null, v2, 24, v[14:15]
	v_mad_u64_u32 v[9:10], null, v9, 24, v[3:4]
	v_mov_b32_e32 v3, v9
	global_load_dwordx2 v[30:31], v[2:3], off glc dlc
	s_waitcnt vmcnt(0)
	global_atomic_cmpswap_x2 v[2:3], v11, v[30:33], s[26:27] offset:24 glc
	s_waitcnt vmcnt(0)
	buffer_gl1_inv
	buffer_gl0_inv
	v_cmp_eq_u64_e32 vcc_lo, v[2:3], v[32:33]
	s_or_b32 s19, vcc_lo, s19
	s_andn2_b32 exec_lo, exec_lo, s19
	s_cbranch_execnz .LBB5_323
; %bb.324:                              ;   in Loop: Header=BB5_271 Depth=1
	s_or_b32 exec_lo, exec_lo, s19
.LBB5_325:                              ;   in Loop: Header=BB5_271 Depth=1
	s_or_b32 exec_lo, exec_lo, s18
.LBB5_326:                              ;   in Loop: Header=BB5_271 Depth=1
	s_or_b32 exec_lo, exec_lo, s5
	s_clause 0x1
	global_load_dwordx2 v[9:10], v11, s[26:27] offset:40
	global_load_dwordx4 v[30:33], v11, s[26:27]
	v_readfirstlane_b32 s18, v2
	v_readfirstlane_b32 s19, v3
	s_mov_b32 s5, exec_lo
	s_waitcnt vmcnt(1)
	v_readfirstlane_b32 s20, v9
	v_readfirstlane_b32 s21, v10
	s_and_b64 s[20:21], s[18:19], s[20:21]
	s_mul_i32 s22, s21, 24
	s_mul_hi_u32 s23, s20, 24
	s_mul_i32 s24, s20, 24
	s_add_i32 s23, s23, s22
	s_waitcnt vmcnt(0)
	v_add_co_u32 v2, vcc_lo, v30, s24
	v_add_co_ci_u32_e32 v3, vcc_lo, s23, v31, vcc_lo
	s_and_saveexec_b32 s22, s4
	s_cbranch_execz .LBB5_328
; %bb.327:                              ;   in Loop: Header=BB5_271 Depth=1
	v_mov_b32_e32 v10, s5
	global_store_dwordx4 v[2:3], v[10:13], off offset:8
.LBB5_328:                              ;   in Loop: Header=BB5_271 Depth=1
	s_or_b32 exec_lo, exec_lo, s22
	s_lshl_b64 s[20:21], s[20:21], 12
	v_cmp_gt_u64_e64 vcc_lo, s[10:11], 56
	v_or_b32_e32 v10, v7, v34
	v_add_co_u32 v32, s5, v32, s20
	v_add_co_ci_u32_e64 v33, s5, s21, v33, s5
	s_lshl_b32 s5, s16, 2
	v_or_b32_e32 v9, 0, v8
	v_cndmask_b32_e32 v7, v10, v7, vcc_lo
	s_add_i32 s5, s5, 28
	v_readfirstlane_b32 s20, v32
	s_and_b32 s5, s5, 0x1e0
	v_cndmask_b32_e32 v15, v9, v8, vcc_lo
	v_readfirstlane_b32 s21, v33
	v_and_or_b32 v14, 0xffffff1f, v7, s5
	global_store_dwordx4 v48, v[14:17], s[20:21]
	global_store_dwordx4 v48, v[18:21], s[20:21] offset:16
	global_store_dwordx4 v48, v[22:25], s[20:21] offset:32
	;; [unrolled: 1-line block ×3, first 2 shown]
	s_and_saveexec_b32 s5, s4
	s_cbranch_execz .LBB5_336
; %bb.329:                              ;   in Loop: Header=BB5_271 Depth=1
	s_clause 0x1
	global_load_dwordx2 v[18:19], v11, s[26:27] offset:32 glc dlc
	global_load_dwordx2 v[7:8], v11, s[26:27] offset:40
	v_mov_b32_e32 v16, s18
	v_mov_b32_e32 v17, s19
	s_waitcnt vmcnt(0)
	v_readfirstlane_b32 s20, v7
	v_readfirstlane_b32 s21, v8
	s_and_b64 s[20:21], s[20:21], s[18:19]
	s_mul_i32 s21, s21, 24
	s_mul_hi_u32 s22, s20, 24
	s_mul_i32 s20, s20, 24
	s_add_i32 s22, s22, s21
	v_add_co_u32 v14, vcc_lo, v30, s20
	v_add_co_ci_u32_e32 v15, vcc_lo, s22, v31, vcc_lo
	s_mov_b32 s20, exec_lo
	global_store_dwordx2 v[14:15], v[18:19], off
	s_waitcnt_vscnt null, 0x0
	global_atomic_cmpswap_x2 v[9:10], v11, v[16:19], s[26:27] offset:32 glc
	s_waitcnt vmcnt(0)
	v_cmpx_ne_u64_e64 v[9:10], v[18:19]
	s_cbranch_execz .LBB5_332
; %bb.330:                              ;   in Loop: Header=BB5_271 Depth=1
	s_mov_b32 s21, 0
.LBB5_331:                              ;   Parent Loop BB5_271 Depth=1
                                        ; =>  This Inner Loop Header: Depth=2
	v_mov_b32_e32 v7, s18
	v_mov_b32_e32 v8, s19
	s_sleep 1
	global_store_dwordx2 v[14:15], v[9:10], off
	s_waitcnt_vscnt null, 0x0
	global_atomic_cmpswap_x2 v[7:8], v11, v[7:10], s[26:27] offset:32 glc
	s_waitcnt vmcnt(0)
	v_cmp_eq_u64_e32 vcc_lo, v[7:8], v[9:10]
	v_mov_b32_e32 v10, v8
	v_mov_b32_e32 v9, v7
	s_or_b32 s21, vcc_lo, s21
	s_andn2_b32 exec_lo, exec_lo, s21
	s_cbranch_execnz .LBB5_331
.LBB5_332:                              ;   in Loop: Header=BB5_271 Depth=1
	s_or_b32 exec_lo, exec_lo, s20
	global_load_dwordx2 v[7:8], v11, s[26:27] offset:16
	s_mov_b32 s21, exec_lo
	s_mov_b32 s20, exec_lo
	v_mbcnt_lo_u32_b32 v9, s21, 0
	v_cmpx_eq_u32_e32 0, v9
	s_cbranch_execz .LBB5_334
; %bb.333:                              ;   in Loop: Header=BB5_271 Depth=1
	s_bcnt1_i32_b32 s21, s21
	v_mov_b32_e32 v10, s21
	s_waitcnt vmcnt(0)
	global_atomic_add_x2 v[7:8], v[10:11], off offset:8
.LBB5_334:                              ;   in Loop: Header=BB5_271 Depth=1
	s_or_b32 exec_lo, exec_lo, s20
	s_waitcnt vmcnt(0)
	global_load_dwordx2 v[14:15], v[7:8], off offset:16
	s_waitcnt vmcnt(0)
	v_cmp_eq_u64_e32 vcc_lo, 0, v[14:15]
	s_cbranch_vccnz .LBB5_336
; %bb.335:                              ;   in Loop: Header=BB5_271 Depth=1
	global_load_dword v10, v[7:8], off offset:24
	s_waitcnt vmcnt(0)
	v_and_b32_e32 v7, 0x7fffff, v10
	s_waitcnt_vscnt null, 0x0
	global_store_dwordx2 v[14:15], v[10:11], off
	v_readfirstlane_b32 m0, v7
	s_sendmsg sendmsg(MSG_INTERRUPT)
.LBB5_336:                              ;   in Loop: Header=BB5_271 Depth=1
	s_or_b32 exec_lo, exec_lo, s5
	v_add_co_u32 v7, vcc_lo, v32, v48
	v_add_co_ci_u32_e32 v8, vcc_lo, 0, v33, vcc_lo
	s_branch .LBB5_340
	.p2align	6
.LBB5_337:                              ;   in Loop: Header=BB5_340 Depth=2
	s_or_b32 exec_lo, exec_lo, s5
	v_readfirstlane_b32 s5, v9
	s_cmp_eq_u32 s5, 0
	s_cbranch_scc1 .LBB5_339
; %bb.338:                              ;   in Loop: Header=BB5_340 Depth=2
	s_sleep 1
	s_cbranch_execnz .LBB5_340
	s_branch .LBB5_342
	.p2align	6
.LBB5_339:                              ;   in Loop: Header=BB5_271 Depth=1
	s_branch .LBB5_342
.LBB5_340:                              ;   Parent Loop BB5_271 Depth=1
                                        ; =>  This Inner Loop Header: Depth=2
	v_mov_b32_e32 v9, 1
	s_and_saveexec_b32 s5, s4
	s_cbranch_execz .LBB5_337
; %bb.341:                              ;   in Loop: Header=BB5_340 Depth=2
	global_load_dword v9, v[2:3], off offset:20 glc dlc
	s_waitcnt vmcnt(0)
	buffer_gl1_inv
	buffer_gl0_inv
	v_and_b32_e32 v9, 1, v9
	s_branch .LBB5_337
.LBB5_342:                              ;   in Loop: Header=BB5_271 Depth=1
	global_load_dwordx4 v[7:10], v[7:8], off
	s_and_saveexec_b32 s5, s4
	s_cbranch_execz .LBB5_270
; %bb.343:                              ;   in Loop: Header=BB5_271 Depth=1
	s_clause 0x2
	global_load_dwordx2 v[2:3], v11, s[26:27] offset:40
	global_load_dwordx2 v[9:10], v11, s[26:27] offset:24 glc dlc
	global_load_dwordx2 v[16:17], v11, s[26:27]
	s_waitcnt vmcnt(2)
	v_add_co_u32 v18, vcc_lo, v2, 1
	v_add_co_ci_u32_e32 v19, vcc_lo, 0, v3, vcc_lo
	v_add_co_u32 v14, vcc_lo, v18, s18
	v_add_co_ci_u32_e32 v15, vcc_lo, s19, v19, vcc_lo
	v_cmp_eq_u64_e32 vcc_lo, 0, v[14:15]
	v_cndmask_b32_e32 v15, v15, v19, vcc_lo
	v_cndmask_b32_e32 v14, v14, v18, vcc_lo
	v_and_b32_e32 v3, v15, v3
	v_and_b32_e32 v2, v14, v2
	v_mul_lo_u32 v3, v3, 24
	v_mul_hi_u32 v18, v2, 24
	v_mul_lo_u32 v2, v2, 24
	v_add_nc_u32_e32 v3, v18, v3
	s_waitcnt vmcnt(0)
	v_add_co_u32 v2, vcc_lo, v16, v2
	v_mov_b32_e32 v16, v9
	v_add_co_ci_u32_e32 v3, vcc_lo, v17, v3, vcc_lo
	v_mov_b32_e32 v17, v10
	global_store_dwordx2 v[2:3], v[9:10], off
	s_waitcnt_vscnt null, 0x0
	global_atomic_cmpswap_x2 v[16:17], v11, v[14:17], s[26:27] offset:24 glc
	s_waitcnt vmcnt(0)
	v_cmp_ne_u64_e32 vcc_lo, v[16:17], v[9:10]
	s_and_b32 exec_lo, exec_lo, vcc_lo
	s_cbranch_execz .LBB5_270
; %bb.344:                              ;   in Loop: Header=BB5_271 Depth=1
	s_mov_b32 s4, 0
.LBB5_345:                              ;   Parent Loop BB5_271 Depth=1
                                        ; =>  This Inner Loop Header: Depth=2
	s_sleep 1
	global_store_dwordx2 v[2:3], v[16:17], off
	s_waitcnt_vscnt null, 0x0
	global_atomic_cmpswap_x2 v[9:10], v11, v[14:17], s[26:27] offset:24 glc
	s_waitcnt vmcnt(0)
	v_cmp_eq_u64_e32 vcc_lo, v[9:10], v[16:17]
	v_mov_b32_e32 v17, v10
	v_mov_b32_e32 v16, v9
	s_or_b32 s4, vcc_lo, s4
	s_andn2_b32 exec_lo, exec_lo, s4
	s_cbranch_execnz .LBB5_345
	s_branch .LBB5_270
.LBB5_346:
	s_branch .LBB5_375
.LBB5_347:
                                        ; implicit-def: $vgpr7_vgpr8
	s_cbranch_execz .LBB5_375
; %bb.348:
	v_readfirstlane_b32 s4, v49
	v_mov_b32_e32 v11, 0
	v_mov_b32_e32 v12, 0
	v_cmp_eq_u32_e64 s4, s4, v49
	s_and_saveexec_b32 s5, s4
	s_cbranch_execz .LBB5_354
; %bb.349:
	v_mov_b32_e32 v2, 0
	s_mov_b32 s6, exec_lo
	global_load_dwordx2 v[9:10], v2, s[26:27] offset:24 glc dlc
	s_waitcnt vmcnt(0)
	buffer_gl1_inv
	buffer_gl0_inv
	s_clause 0x1
	global_load_dwordx2 v[7:8], v2, s[26:27] offset:40
	global_load_dwordx2 v[11:12], v2, s[26:27]
	s_waitcnt vmcnt(1)
	v_and_b32_e32 v3, v8, v10
	v_and_b32_e32 v7, v7, v9
	v_mul_lo_u32 v3, v3, 24
	v_mul_hi_u32 v8, v7, 24
	v_mul_lo_u32 v7, v7, 24
	v_add_nc_u32_e32 v3, v8, v3
	s_waitcnt vmcnt(0)
	v_add_co_u32 v7, vcc_lo, v11, v7
	v_add_co_ci_u32_e32 v8, vcc_lo, v12, v3, vcc_lo
	global_load_dwordx2 v[7:8], v[7:8], off glc dlc
	s_waitcnt vmcnt(0)
	global_atomic_cmpswap_x2 v[11:12], v2, v[7:10], s[26:27] offset:24 glc
	s_waitcnt vmcnt(0)
	buffer_gl1_inv
	buffer_gl0_inv
	v_cmpx_ne_u64_e64 v[11:12], v[9:10]
	s_cbranch_execz .LBB5_353
; %bb.350:
	s_mov_b32 s7, 0
	.p2align	6
.LBB5_351:                              ; =>This Inner Loop Header: Depth=1
	s_sleep 1
	s_clause 0x1
	global_load_dwordx2 v[7:8], v2, s[26:27] offset:40
	global_load_dwordx2 v[13:14], v2, s[26:27]
	v_mov_b32_e32 v9, v11
	v_mov_b32_e32 v10, v12
	s_waitcnt vmcnt(1)
	v_and_b32_e32 v3, v7, v9
	v_and_b32_e32 v7, v8, v10
	s_waitcnt vmcnt(0)
	v_mad_u64_u32 v[11:12], null, v3, 24, v[13:14]
	v_mov_b32_e32 v3, v12
	v_mad_u64_u32 v[7:8], null, v7, 24, v[3:4]
	v_mov_b32_e32 v12, v7
	global_load_dwordx2 v[7:8], v[11:12], off glc dlc
	s_waitcnt vmcnt(0)
	global_atomic_cmpswap_x2 v[11:12], v2, v[7:10], s[26:27] offset:24 glc
	s_waitcnt vmcnt(0)
	buffer_gl1_inv
	buffer_gl0_inv
	v_cmp_eq_u64_e32 vcc_lo, v[11:12], v[9:10]
	s_or_b32 s7, vcc_lo, s7
	s_andn2_b32 exec_lo, exec_lo, s7
	s_cbranch_execnz .LBB5_351
; %bb.352:
	s_or_b32 exec_lo, exec_lo, s7
.LBB5_353:
	s_or_b32 exec_lo, exec_lo, s6
.LBB5_354:
	s_or_b32 exec_lo, exec_lo, s5
	v_mov_b32_e32 v2, 0
	v_readfirstlane_b32 s6, v11
	v_readfirstlane_b32 s7, v12
	s_mov_b32 s5, exec_lo
	s_clause 0x1
	global_load_dwordx2 v[13:14], v2, s[26:27] offset:40
	global_load_dwordx4 v[7:10], v2, s[26:27]
	s_waitcnt vmcnt(1)
	v_readfirstlane_b32 s10, v13
	v_readfirstlane_b32 s11, v14
	s_and_b64 s[10:11], s[6:7], s[10:11]
	s_mul_i32 s16, s11, 24
	s_mul_hi_u32 s17, s10, 24
	s_mul_i32 s18, s10, 24
	s_add_i32 s17, s17, s16
	s_waitcnt vmcnt(0)
	v_add_co_u32 v11, vcc_lo, v7, s18
	v_add_co_ci_u32_e32 v12, vcc_lo, s17, v8, vcc_lo
	s_and_saveexec_b32 s16, s4
	s_cbranch_execz .LBB5_356
; %bb.355:
	v_mov_b32_e32 v13, s5
	v_mov_b32_e32 v14, v2
	;; [unrolled: 1-line block ×4, first 2 shown]
	global_store_dwordx4 v[11:12], v[13:16], off offset:8
.LBB5_356:
	s_or_b32 exec_lo, exec_lo, s16
	s_lshl_b64 s[10:11], s[10:11], 12
	s_mov_b32 s16, 0
	v_add_co_u32 v9, vcc_lo, v9, s10
	v_add_co_ci_u32_e32 v10, vcc_lo, s11, v10, vcc_lo
	s_mov_b32 s17, s16
	v_readfirstlane_b32 s10, v9
	v_add_co_u32 v9, vcc_lo, v9, v48
	s_mov_b32 s18, s16
	s_mov_b32 s19, s16
	v_and_or_b32 v0, 0xffffff1f, v0, 32
	v_mov_b32_e32 v3, v2
	v_readfirstlane_b32 s11, v10
	v_mov_b32_e32 v13, s16
	v_add_co_ci_u32_e32 v10, vcc_lo, 0, v10, vcc_lo
	v_mov_b32_e32 v14, s17
	v_mov_b32_e32 v15, s18
	;; [unrolled: 1-line block ×3, first 2 shown]
	global_store_dwordx4 v48, v[0:3], s[10:11]
	global_store_dwordx4 v48, v[13:16], s[10:11] offset:16
	global_store_dwordx4 v48, v[13:16], s[10:11] offset:32
	;; [unrolled: 1-line block ×3, first 2 shown]
	s_and_saveexec_b32 s5, s4
	s_cbranch_execz .LBB5_364
; %bb.357:
	v_mov_b32_e32 v13, 0
	v_mov_b32_e32 v14, s6
	;; [unrolled: 1-line block ×3, first 2 shown]
	s_clause 0x1
	global_load_dwordx2 v[16:17], v13, s[26:27] offset:32 glc dlc
	global_load_dwordx2 v[0:1], v13, s[26:27] offset:40
	s_waitcnt vmcnt(0)
	v_readfirstlane_b32 s10, v0
	v_readfirstlane_b32 s11, v1
	s_and_b64 s[10:11], s[10:11], s[6:7]
	s_mul_i32 s11, s11, 24
	s_mul_hi_u32 s16, s10, 24
	s_mul_i32 s10, s10, 24
	s_add_i32 s16, s16, s11
	v_add_co_u32 v7, vcc_lo, v7, s10
	v_add_co_ci_u32_e32 v8, vcc_lo, s16, v8, vcc_lo
	s_mov_b32 s10, exec_lo
	global_store_dwordx2 v[7:8], v[16:17], off
	s_waitcnt_vscnt null, 0x0
	global_atomic_cmpswap_x2 v[2:3], v13, v[14:17], s[26:27] offset:32 glc
	s_waitcnt vmcnt(0)
	v_cmpx_ne_u64_e64 v[2:3], v[16:17]
	s_cbranch_execz .LBB5_360
; %bb.358:
	s_mov_b32 s11, 0
.LBB5_359:                              ; =>This Inner Loop Header: Depth=1
	v_mov_b32_e32 v0, s6
	v_mov_b32_e32 v1, s7
	s_sleep 1
	global_store_dwordx2 v[7:8], v[2:3], off
	s_waitcnt_vscnt null, 0x0
	global_atomic_cmpswap_x2 v[0:1], v13, v[0:3], s[26:27] offset:32 glc
	s_waitcnt vmcnt(0)
	v_cmp_eq_u64_e32 vcc_lo, v[0:1], v[2:3]
	v_mov_b32_e32 v3, v1
	v_mov_b32_e32 v2, v0
	s_or_b32 s11, vcc_lo, s11
	s_andn2_b32 exec_lo, exec_lo, s11
	s_cbranch_execnz .LBB5_359
.LBB5_360:
	s_or_b32 exec_lo, exec_lo, s10
	v_mov_b32_e32 v3, 0
	s_mov_b32 s11, exec_lo
	s_mov_b32 s10, exec_lo
	v_mbcnt_lo_u32_b32 v2, s11, 0
	global_load_dwordx2 v[0:1], v3, s[26:27] offset:16
	v_cmpx_eq_u32_e32 0, v2
	s_cbranch_execz .LBB5_362
; %bb.361:
	s_bcnt1_i32_b32 s11, s11
	v_mov_b32_e32 v2, s11
	s_waitcnt vmcnt(0)
	global_atomic_add_x2 v[0:1], v[2:3], off offset:8
.LBB5_362:
	s_or_b32 exec_lo, exec_lo, s10
	s_waitcnt vmcnt(0)
	global_load_dwordx2 v[2:3], v[0:1], off offset:16
	s_waitcnt vmcnt(0)
	v_cmp_eq_u64_e32 vcc_lo, 0, v[2:3]
	s_cbranch_vccnz .LBB5_364
; %bb.363:
	global_load_dword v0, v[0:1], off offset:24
	v_mov_b32_e32 v1, 0
	s_waitcnt vmcnt(0)
	v_and_b32_e32 v7, 0x7fffff, v0
	s_waitcnt_vscnt null, 0x0
	global_store_dwordx2 v[2:3], v[0:1], off
	v_readfirstlane_b32 m0, v7
	s_sendmsg sendmsg(MSG_INTERRUPT)
.LBB5_364:
	s_or_b32 exec_lo, exec_lo, s5
	s_branch .LBB5_368
	.p2align	6
.LBB5_365:                              ;   in Loop: Header=BB5_368 Depth=1
	s_or_b32 exec_lo, exec_lo, s5
	v_readfirstlane_b32 s5, v0
	s_cmp_eq_u32 s5, 0
	s_cbranch_scc1 .LBB5_367
; %bb.366:                              ;   in Loop: Header=BB5_368 Depth=1
	s_sleep 1
	s_cbranch_execnz .LBB5_368
	s_branch .LBB5_370
	.p2align	6
.LBB5_367:
	s_branch .LBB5_370
.LBB5_368:                              ; =>This Inner Loop Header: Depth=1
	v_mov_b32_e32 v0, 1
	s_and_saveexec_b32 s5, s4
	s_cbranch_execz .LBB5_365
; %bb.369:                              ;   in Loop: Header=BB5_368 Depth=1
	global_load_dword v0, v[11:12], off offset:20 glc dlc
	s_waitcnt vmcnt(0)
	buffer_gl1_inv
	buffer_gl0_inv
	v_and_b32_e32 v0, 1, v0
	s_branch .LBB5_365
.LBB5_370:
	global_load_dwordx2 v[7:8], v[9:10], off
	s_and_saveexec_b32 s5, s4
	s_cbranch_execz .LBB5_374
; %bb.371:
	v_mov_b32_e32 v11, 0
	s_clause 0x2
	global_load_dwordx2 v[2:3], v11, s[26:27] offset:40
	global_load_dwordx2 v[12:13], v11, s[26:27] offset:24 glc dlc
	global_load_dwordx2 v[9:10], v11, s[26:27]
	s_waitcnt vmcnt(2)
	v_add_co_u32 v14, vcc_lo, v2, 1
	v_add_co_ci_u32_e32 v15, vcc_lo, 0, v3, vcc_lo
	v_add_co_u32 v0, vcc_lo, v14, s6
	v_add_co_ci_u32_e32 v1, vcc_lo, s7, v15, vcc_lo
	v_cmp_eq_u64_e32 vcc_lo, 0, v[0:1]
	v_cndmask_b32_e32 v1, v1, v15, vcc_lo
	v_cndmask_b32_e32 v0, v0, v14, vcc_lo
	v_and_b32_e32 v3, v1, v3
	v_and_b32_e32 v2, v0, v2
	v_mul_lo_u32 v3, v3, 24
	v_mul_hi_u32 v14, v2, 24
	v_mul_lo_u32 v2, v2, 24
	v_add_nc_u32_e32 v3, v14, v3
	s_waitcnt vmcnt(0)
	v_add_co_u32 v9, vcc_lo, v9, v2
	v_mov_b32_e32 v2, v12
	v_add_co_ci_u32_e32 v10, vcc_lo, v10, v3, vcc_lo
	v_mov_b32_e32 v3, v13
	global_store_dwordx2 v[9:10], v[12:13], off
	s_waitcnt_vscnt null, 0x0
	global_atomic_cmpswap_x2 v[2:3], v11, v[0:3], s[26:27] offset:24 glc
	s_waitcnt vmcnt(0)
	v_cmp_ne_u64_e32 vcc_lo, v[2:3], v[12:13]
	s_and_b32 exec_lo, exec_lo, vcc_lo
	s_cbranch_execz .LBB5_374
; %bb.372:
	s_mov_b32 s4, 0
.LBB5_373:                              ; =>This Inner Loop Header: Depth=1
	s_sleep 1
	global_store_dwordx2 v[9:10], v[2:3], off
	s_waitcnt_vscnt null, 0x0
	global_atomic_cmpswap_x2 v[12:13], v11, v[0:3], s[26:27] offset:24 glc
	s_waitcnt vmcnt(0)
	v_cmp_eq_u64_e32 vcc_lo, v[12:13], v[2:3]
	v_mov_b32_e32 v2, v12
	v_mov_b32_e32 v3, v13
	s_or_b32 s4, vcc_lo, s4
	s_andn2_b32 exec_lo, exec_lo, s4
	s_cbranch_execnz .LBB5_373
.LBB5_374:
	s_or_b32 exec_lo, exec_lo, s5
.LBB5_375:
	v_readfirstlane_b32 s4, v49
	v_mov_b32_e32 v11, 0
	v_mov_b32_e32 v12, 0
	v_cmp_eq_u32_e64 s4, s4, v49
	s_and_saveexec_b32 s5, s4
	s_cbranch_execz .LBB5_381
; %bb.376:
	s_waitcnt vmcnt(0)
	v_mov_b32_e32 v0, 0
	s_mov_b32 s6, exec_lo
	global_load_dwordx2 v[13:14], v0, s[26:27] offset:24 glc dlc
	s_waitcnt vmcnt(0)
	buffer_gl1_inv
	buffer_gl0_inv
	s_clause 0x1
	global_load_dwordx2 v[1:2], v0, s[26:27] offset:40
	global_load_dwordx2 v[9:10], v0, s[26:27]
	s_waitcnt vmcnt(1)
	v_and_b32_e32 v2, v2, v14
	v_and_b32_e32 v1, v1, v13
	v_mul_lo_u32 v2, v2, 24
	v_mul_hi_u32 v3, v1, 24
	v_mul_lo_u32 v1, v1, 24
	v_add_nc_u32_e32 v2, v3, v2
	s_waitcnt vmcnt(0)
	v_add_co_u32 v1, vcc_lo, v9, v1
	v_add_co_ci_u32_e32 v2, vcc_lo, v10, v2, vcc_lo
	global_load_dwordx2 v[11:12], v[1:2], off glc dlc
	s_waitcnt vmcnt(0)
	global_atomic_cmpswap_x2 v[11:12], v0, v[11:14], s[26:27] offset:24 glc
	s_waitcnt vmcnt(0)
	buffer_gl1_inv
	buffer_gl0_inv
	v_cmpx_ne_u64_e64 v[11:12], v[13:14]
	s_cbranch_execz .LBB5_380
; %bb.377:
	s_mov_b32 s7, 0
	.p2align	6
.LBB5_378:                              ; =>This Inner Loop Header: Depth=1
	s_sleep 1
	s_clause 0x1
	global_load_dwordx2 v[1:2], v0, s[26:27] offset:40
	global_load_dwordx2 v[9:10], v0, s[26:27]
	v_mov_b32_e32 v14, v12
	v_mov_b32_e32 v13, v11
	s_waitcnt vmcnt(1)
	v_and_b32_e32 v1, v1, v13
	v_and_b32_e32 v2, v2, v14
	s_waitcnt vmcnt(0)
	v_mad_u64_u32 v[9:10], null, v1, 24, v[9:10]
	v_mov_b32_e32 v1, v10
	v_mad_u64_u32 v[1:2], null, v2, 24, v[1:2]
	v_mov_b32_e32 v10, v1
	global_load_dwordx2 v[11:12], v[9:10], off glc dlc
	s_waitcnt vmcnt(0)
	global_atomic_cmpswap_x2 v[11:12], v0, v[11:14], s[26:27] offset:24 glc
	s_waitcnt vmcnt(0)
	buffer_gl1_inv
	buffer_gl0_inv
	v_cmp_eq_u64_e32 vcc_lo, v[11:12], v[13:14]
	s_or_b32 s7, vcc_lo, s7
	s_andn2_b32 exec_lo, exec_lo, s7
	s_cbranch_execnz .LBB5_378
; %bb.379:
	s_or_b32 exec_lo, exec_lo, s7
.LBB5_380:
	s_or_b32 exec_lo, exec_lo, s6
.LBB5_381:
	s_or_b32 exec_lo, exec_lo, s5
	s_waitcnt vmcnt(0)
	v_mov_b32_e32 v10, 0
	v_readfirstlane_b32 s6, v11
	v_readfirstlane_b32 s7, v12
	s_mov_b32 s5, exec_lo
	s_clause 0x1
	global_load_dwordx2 v[13:14], v10, s[26:27] offset:40
	global_load_dwordx4 v[0:3], v10, s[26:27]
	s_waitcnt vmcnt(1)
	v_readfirstlane_b32 s10, v13
	v_readfirstlane_b32 s11, v14
	s_and_b64 s[10:11], s[6:7], s[10:11]
	s_mul_i32 s16, s11, 24
	s_mul_hi_u32 s17, s10, 24
	s_mul_i32 s18, s10, 24
	s_add_i32 s17, s17, s16
	s_waitcnt vmcnt(0)
	v_add_co_u32 v11, vcc_lo, v0, s18
	v_add_co_ci_u32_e32 v12, vcc_lo, s17, v1, vcc_lo
	s_and_saveexec_b32 s16, s4
	s_cbranch_execz .LBB5_383
; %bb.382:
	v_mov_b32_e32 v9, s5
	v_mov_b32_e32 v14, v10
	;; [unrolled: 1-line block ×5, first 2 shown]
	global_store_dwordx4 v[11:12], v[13:16], off offset:8
.LBB5_383:
	s_or_b32 exec_lo, exec_lo, s16
	s_lshl_b64 s[10:11], s[10:11], 12
	s_mov_b32 s16, 0
	v_add_co_u32 v2, vcc_lo, v2, s10
	v_add_co_ci_u32_e32 v3, vcc_lo, s11, v3, vcc_lo
	s_mov_b32 s17, s16
	s_mov_b32 s18, s16
	;; [unrolled: 1-line block ×3, first 2 shown]
	v_and_or_b32 v7, 0xffffff1d, v7, 34
	v_mov_b32_e32 v9, 10
	v_readfirstlane_b32 s10, v2
	v_readfirstlane_b32 s11, v3
	v_mov_b32_e32 v13, s16
	v_mov_b32_e32 v14, s17
	;; [unrolled: 1-line block ×4, first 2 shown]
	global_store_dwordx4 v48, v[7:10], s[10:11]
	global_store_dwordx4 v48, v[13:16], s[10:11] offset:16
	global_store_dwordx4 v48, v[13:16], s[10:11] offset:32
	;; [unrolled: 1-line block ×3, first 2 shown]
	s_and_saveexec_b32 s5, s4
	s_cbranch_execz .LBB5_391
; %bb.384:
	v_mov_b32_e32 v9, 0
	v_mov_b32_e32 v13, s6
	;; [unrolled: 1-line block ×3, first 2 shown]
	s_clause 0x1
	global_load_dwordx2 v[15:16], v9, s[26:27] offset:32 glc dlc
	global_load_dwordx2 v[2:3], v9, s[26:27] offset:40
	s_waitcnt vmcnt(0)
	v_readfirstlane_b32 s10, v2
	v_readfirstlane_b32 s11, v3
	s_and_b64 s[10:11], s[10:11], s[6:7]
	s_mul_i32 s11, s11, 24
	s_mul_hi_u32 s16, s10, 24
	s_mul_i32 s10, s10, 24
	s_add_i32 s16, s16, s11
	v_add_co_u32 v7, vcc_lo, v0, s10
	v_add_co_ci_u32_e32 v8, vcc_lo, s16, v1, vcc_lo
	s_mov_b32 s10, exec_lo
	global_store_dwordx2 v[7:8], v[15:16], off
	s_waitcnt_vscnt null, 0x0
	global_atomic_cmpswap_x2 v[2:3], v9, v[13:16], s[26:27] offset:32 glc
	s_waitcnt vmcnt(0)
	v_cmpx_ne_u64_e64 v[2:3], v[15:16]
	s_cbranch_execz .LBB5_387
; %bb.385:
	s_mov_b32 s11, 0
.LBB5_386:                              ; =>This Inner Loop Header: Depth=1
	v_mov_b32_e32 v0, s6
	v_mov_b32_e32 v1, s7
	s_sleep 1
	global_store_dwordx2 v[7:8], v[2:3], off
	s_waitcnt_vscnt null, 0x0
	global_atomic_cmpswap_x2 v[0:1], v9, v[0:3], s[26:27] offset:32 glc
	s_waitcnt vmcnt(0)
	v_cmp_eq_u64_e32 vcc_lo, v[0:1], v[2:3]
	v_mov_b32_e32 v3, v1
	v_mov_b32_e32 v2, v0
	s_or_b32 s11, vcc_lo, s11
	s_andn2_b32 exec_lo, exec_lo, s11
	s_cbranch_execnz .LBB5_386
.LBB5_387:
	s_or_b32 exec_lo, exec_lo, s10
	v_mov_b32_e32 v3, 0
	s_mov_b32 s11, exec_lo
	s_mov_b32 s10, exec_lo
	v_mbcnt_lo_u32_b32 v2, s11, 0
	global_load_dwordx2 v[0:1], v3, s[26:27] offset:16
	v_cmpx_eq_u32_e32 0, v2
	s_cbranch_execz .LBB5_389
; %bb.388:
	s_bcnt1_i32_b32 s11, s11
	v_mov_b32_e32 v2, s11
	s_waitcnt vmcnt(0)
	global_atomic_add_x2 v[0:1], v[2:3], off offset:8
.LBB5_389:
	s_or_b32 exec_lo, exec_lo, s10
	s_waitcnt vmcnt(0)
	global_load_dwordx2 v[2:3], v[0:1], off offset:16
	s_waitcnt vmcnt(0)
	v_cmp_eq_u64_e32 vcc_lo, 0, v[2:3]
	s_cbranch_vccnz .LBB5_391
; %bb.390:
	global_load_dword v0, v[0:1], off offset:24
	v_mov_b32_e32 v1, 0
	s_waitcnt vmcnt(0)
	v_and_b32_e32 v7, 0x7fffff, v0
	s_waitcnt_vscnt null, 0x0
	global_store_dwordx2 v[2:3], v[0:1], off
	v_readfirstlane_b32 m0, v7
	s_sendmsg sendmsg(MSG_INTERRUPT)
.LBB5_391:
	s_or_b32 exec_lo, exec_lo, s5
	s_branch .LBB5_395
	.p2align	6
.LBB5_392:                              ;   in Loop: Header=BB5_395 Depth=1
	s_or_b32 exec_lo, exec_lo, s5
	v_readfirstlane_b32 s5, v0
	s_cmp_eq_u32 s5, 0
	s_cbranch_scc1 .LBB5_394
; %bb.393:                              ;   in Loop: Header=BB5_395 Depth=1
	s_sleep 1
	s_cbranch_execnz .LBB5_395
	s_branch .LBB5_397
	.p2align	6
.LBB5_394:
	s_branch .LBB5_397
.LBB5_395:                              ; =>This Inner Loop Header: Depth=1
	v_mov_b32_e32 v0, 1
	s_and_saveexec_b32 s5, s4
	s_cbranch_execz .LBB5_392
; %bb.396:                              ;   in Loop: Header=BB5_395 Depth=1
	global_load_dword v0, v[11:12], off offset:20 glc dlc
	s_waitcnt vmcnt(0)
	buffer_gl1_inv
	buffer_gl0_inv
	v_and_b32_e32 v0, 1, v0
	s_branch .LBB5_392
.LBB5_397:
	s_and_saveexec_b32 s5, s4
	s_cbranch_execz .LBB5_401
; %bb.398:
	v_mov_b32_e32 v9, 0
	s_clause 0x2
	global_load_dwordx2 v[2:3], v9, s[26:27] offset:40
	global_load_dwordx2 v[10:11], v9, s[26:27] offset:24 glc dlc
	global_load_dwordx2 v[7:8], v9, s[26:27]
	s_waitcnt vmcnt(2)
	v_add_co_u32 v12, vcc_lo, v2, 1
	v_add_co_ci_u32_e32 v13, vcc_lo, 0, v3, vcc_lo
	v_add_co_u32 v0, vcc_lo, v12, s6
	v_add_co_ci_u32_e32 v1, vcc_lo, s7, v13, vcc_lo
	v_cmp_eq_u64_e32 vcc_lo, 0, v[0:1]
	v_cndmask_b32_e32 v1, v1, v13, vcc_lo
	v_cndmask_b32_e32 v0, v0, v12, vcc_lo
	v_and_b32_e32 v3, v1, v3
	v_and_b32_e32 v2, v0, v2
	v_mul_lo_u32 v3, v3, 24
	v_mul_hi_u32 v12, v2, 24
	v_mul_lo_u32 v2, v2, 24
	v_add_nc_u32_e32 v3, v12, v3
	s_waitcnt vmcnt(0)
	v_add_co_u32 v7, vcc_lo, v7, v2
	v_mov_b32_e32 v2, v10
	v_add_co_ci_u32_e32 v8, vcc_lo, v8, v3, vcc_lo
	v_mov_b32_e32 v3, v11
	global_store_dwordx2 v[7:8], v[10:11], off
	s_waitcnt_vscnt null, 0x0
	global_atomic_cmpswap_x2 v[2:3], v9, v[0:3], s[26:27] offset:24 glc
	s_waitcnt vmcnt(0)
	v_cmp_ne_u64_e32 vcc_lo, v[2:3], v[10:11]
	s_and_b32 exec_lo, exec_lo, vcc_lo
	s_cbranch_execz .LBB5_401
; %bb.399:
	s_mov_b32 s4, 0
.LBB5_400:                              ; =>This Inner Loop Header: Depth=1
	s_sleep 1
	global_store_dwordx2 v[7:8], v[2:3], off
	s_waitcnt_vscnt null, 0x0
	global_atomic_cmpswap_x2 v[10:11], v9, v[0:3], s[26:27] offset:24 glc
	s_waitcnt vmcnt(0)
	v_cmp_eq_u64_e32 vcc_lo, v[10:11], v[2:3]
	v_mov_b32_e32 v2, v10
	v_mov_b32_e32 v3, v11
	s_or_b32 s4, vcc_lo, s4
	s_andn2_b32 exec_lo, exec_lo, s4
	s_cbranch_execnz .LBB5_400
.LBB5_401:
	s_or_b32 exec_lo, exec_lo, s5
	v_readfirstlane_b32 s4, v49
	v_mov_b32_e32 v9, 0
	v_mov_b32_e32 v10, 0
	v_cmp_eq_u32_e64 s4, s4, v49
	s_and_saveexec_b32 s5, s4
	s_cbranch_execz .LBB5_407
; %bb.402:
	v_mov_b32_e32 v0, 0
	s_mov_b32 s6, exec_lo
	global_load_dwordx2 v[11:12], v0, s[26:27] offset:24 glc dlc
	s_waitcnt vmcnt(0)
	buffer_gl1_inv
	buffer_gl0_inv
	s_clause 0x1
	global_load_dwordx2 v[1:2], v0, s[26:27] offset:40
	global_load_dwordx2 v[7:8], v0, s[26:27]
	s_waitcnt vmcnt(1)
	v_and_b32_e32 v2, v2, v12
	v_and_b32_e32 v1, v1, v11
	v_mul_lo_u32 v2, v2, 24
	v_mul_hi_u32 v3, v1, 24
	v_mul_lo_u32 v1, v1, 24
	v_add_nc_u32_e32 v2, v3, v2
	s_waitcnt vmcnt(0)
	v_add_co_u32 v1, vcc_lo, v7, v1
	v_add_co_ci_u32_e32 v2, vcc_lo, v8, v2, vcc_lo
	global_load_dwordx2 v[9:10], v[1:2], off glc dlc
	s_waitcnt vmcnt(0)
	global_atomic_cmpswap_x2 v[9:10], v0, v[9:12], s[26:27] offset:24 glc
	s_waitcnt vmcnt(0)
	buffer_gl1_inv
	buffer_gl0_inv
	v_cmpx_ne_u64_e64 v[9:10], v[11:12]
	s_cbranch_execz .LBB5_406
; %bb.403:
	s_mov_b32 s7, 0
	.p2align	6
.LBB5_404:                              ; =>This Inner Loop Header: Depth=1
	s_sleep 1
	s_clause 0x1
	global_load_dwordx2 v[1:2], v0, s[26:27] offset:40
	global_load_dwordx2 v[7:8], v0, s[26:27]
	v_mov_b32_e32 v12, v10
	v_mov_b32_e32 v11, v9
	s_waitcnt vmcnt(1)
	v_and_b32_e32 v1, v1, v11
	v_and_b32_e32 v2, v2, v12
	s_waitcnt vmcnt(0)
	v_mad_u64_u32 v[7:8], null, v1, 24, v[7:8]
	v_mov_b32_e32 v1, v8
	v_mad_u64_u32 v[1:2], null, v2, 24, v[1:2]
	v_mov_b32_e32 v8, v1
	global_load_dwordx2 v[9:10], v[7:8], off glc dlc
	s_waitcnt vmcnt(0)
	global_atomic_cmpswap_x2 v[9:10], v0, v[9:12], s[26:27] offset:24 glc
	s_waitcnt vmcnt(0)
	buffer_gl1_inv
	buffer_gl0_inv
	v_cmp_eq_u64_e32 vcc_lo, v[9:10], v[11:12]
	s_or_b32 s7, vcc_lo, s7
	s_andn2_b32 exec_lo, exec_lo, s7
	s_cbranch_execnz .LBB5_404
; %bb.405:
	s_or_b32 exec_lo, exec_lo, s7
.LBB5_406:
	s_or_b32 exec_lo, exec_lo, s6
.LBB5_407:
	s_or_b32 exec_lo, exec_lo, s5
	v_mov_b32_e32 v8, 0
	v_readfirstlane_b32 s6, v9
	v_readfirstlane_b32 s7, v10
	s_mov_b32 s5, exec_lo
	s_clause 0x1
	global_load_dwordx2 v[11:12], v8, s[26:27] offset:40
	global_load_dwordx4 v[0:3], v8, s[26:27]
	s_waitcnt vmcnt(1)
	v_readfirstlane_b32 s10, v11
	v_readfirstlane_b32 s11, v12
	s_and_b64 s[10:11], s[6:7], s[10:11]
	s_mul_i32 s16, s11, 24
	s_mul_hi_u32 s17, s10, 24
	s_mul_i32 s18, s10, 24
	s_add_i32 s17, s17, s16
	s_waitcnt vmcnt(0)
	v_add_co_u32 v11, vcc_lo, v0, s18
	v_add_co_ci_u32_e32 v12, vcc_lo, s17, v1, vcc_lo
	s_and_saveexec_b32 s16, s4
	s_cbranch_execz .LBB5_409
; %bb.408:
	v_mov_b32_e32 v7, s5
	v_mov_b32_e32 v9, 2
	;; [unrolled: 1-line block ×3, first 2 shown]
	global_store_dwordx4 v[11:12], v[7:10], off offset:8
.LBB5_409:
	s_or_b32 exec_lo, exec_lo, s16
	s_lshl_b64 s[10:11], s[10:11], 12
	s_mov_b32 s16, 0
	v_add_co_u32 v2, vcc_lo, v2, s10
	v_add_co_ci_u32_e32 v3, vcc_lo, s11, v3, vcc_lo
	s_mov_b32 s17, s16
	v_add_co_u32 v13, vcc_lo, v2, v48
	s_mov_b32 s18, s16
	s_mov_b32 s19, s16
	v_mov_b32_e32 v7, 33
	v_mov_b32_e32 v9, v8
	;; [unrolled: 1-line block ×3, first 2 shown]
	v_readfirstlane_b32 s10, v2
	v_readfirstlane_b32 s11, v3
	v_mov_b32_e32 v15, s16
	v_add_co_ci_u32_e32 v14, vcc_lo, 0, v3, vcc_lo
	v_mov_b32_e32 v16, s17
	v_mov_b32_e32 v17, s18
	;; [unrolled: 1-line block ×3, first 2 shown]
	global_store_dwordx4 v48, v[7:10], s[10:11]
	global_store_dwordx4 v48, v[15:18], s[10:11] offset:16
	global_store_dwordx4 v48, v[15:18], s[10:11] offset:32
	;; [unrolled: 1-line block ×3, first 2 shown]
	s_and_saveexec_b32 s5, s4
	s_cbranch_execz .LBB5_417
; %bb.410:
	v_mov_b32_e32 v9, 0
	v_mov_b32_e32 v15, s6
	v_mov_b32_e32 v16, s7
	s_clause 0x1
	global_load_dwordx2 v[17:18], v9, s[26:27] offset:32 glc dlc
	global_load_dwordx2 v[2:3], v9, s[26:27] offset:40
	s_waitcnt vmcnt(0)
	v_readfirstlane_b32 s10, v2
	v_readfirstlane_b32 s11, v3
	s_and_b64 s[10:11], s[10:11], s[6:7]
	s_mul_i32 s11, s11, 24
	s_mul_hi_u32 s16, s10, 24
	s_mul_i32 s10, s10, 24
	s_add_i32 s16, s16, s11
	v_add_co_u32 v7, vcc_lo, v0, s10
	v_add_co_ci_u32_e32 v8, vcc_lo, s16, v1, vcc_lo
	s_mov_b32 s10, exec_lo
	global_store_dwordx2 v[7:8], v[17:18], off
	s_waitcnt_vscnt null, 0x0
	global_atomic_cmpswap_x2 v[2:3], v9, v[15:18], s[26:27] offset:32 glc
	s_waitcnt vmcnt(0)
	v_cmpx_ne_u64_e64 v[2:3], v[17:18]
	s_cbranch_execz .LBB5_413
; %bb.411:
	s_mov_b32 s11, 0
.LBB5_412:                              ; =>This Inner Loop Header: Depth=1
	v_mov_b32_e32 v0, s6
	v_mov_b32_e32 v1, s7
	s_sleep 1
	global_store_dwordx2 v[7:8], v[2:3], off
	s_waitcnt_vscnt null, 0x0
	global_atomic_cmpswap_x2 v[0:1], v9, v[0:3], s[26:27] offset:32 glc
	s_waitcnt vmcnt(0)
	v_cmp_eq_u64_e32 vcc_lo, v[0:1], v[2:3]
	v_mov_b32_e32 v3, v1
	v_mov_b32_e32 v2, v0
	s_or_b32 s11, vcc_lo, s11
	s_andn2_b32 exec_lo, exec_lo, s11
	s_cbranch_execnz .LBB5_412
.LBB5_413:
	s_or_b32 exec_lo, exec_lo, s10
	v_mov_b32_e32 v3, 0
	s_mov_b32 s11, exec_lo
	s_mov_b32 s10, exec_lo
	v_mbcnt_lo_u32_b32 v2, s11, 0
	global_load_dwordx2 v[0:1], v3, s[26:27] offset:16
	v_cmpx_eq_u32_e32 0, v2
	s_cbranch_execz .LBB5_415
; %bb.414:
	s_bcnt1_i32_b32 s11, s11
	v_mov_b32_e32 v2, s11
	s_waitcnt vmcnt(0)
	global_atomic_add_x2 v[0:1], v[2:3], off offset:8
.LBB5_415:
	s_or_b32 exec_lo, exec_lo, s10
	s_waitcnt vmcnt(0)
	global_load_dwordx2 v[2:3], v[0:1], off offset:16
	s_waitcnt vmcnt(0)
	v_cmp_eq_u64_e32 vcc_lo, 0, v[2:3]
	s_cbranch_vccnz .LBB5_417
; %bb.416:
	global_load_dword v0, v[0:1], off offset:24
	v_mov_b32_e32 v1, 0
	s_waitcnt vmcnt(0)
	v_and_b32_e32 v7, 0x7fffff, v0
	s_waitcnt_vscnt null, 0x0
	global_store_dwordx2 v[2:3], v[0:1], off
	v_readfirstlane_b32 m0, v7
	s_sendmsg sendmsg(MSG_INTERRUPT)
.LBB5_417:
	s_or_b32 exec_lo, exec_lo, s5
	s_branch .LBB5_421
	.p2align	6
.LBB5_418:                              ;   in Loop: Header=BB5_421 Depth=1
	s_or_b32 exec_lo, exec_lo, s5
	v_readfirstlane_b32 s5, v0
	s_cmp_eq_u32 s5, 0
	s_cbranch_scc1 .LBB5_420
; %bb.419:                              ;   in Loop: Header=BB5_421 Depth=1
	s_sleep 1
	s_cbranch_execnz .LBB5_421
	s_branch .LBB5_423
	.p2align	6
.LBB5_420:
	s_branch .LBB5_423
.LBB5_421:                              ; =>This Inner Loop Header: Depth=1
	v_mov_b32_e32 v0, 1
	s_and_saveexec_b32 s5, s4
	s_cbranch_execz .LBB5_418
; %bb.422:                              ;   in Loop: Header=BB5_421 Depth=1
	global_load_dword v0, v[11:12], off offset:20 glc dlc
	s_waitcnt vmcnt(0)
	buffer_gl1_inv
	buffer_gl0_inv
	v_and_b32_e32 v0, 1, v0
	s_branch .LBB5_418
.LBB5_423:
	global_load_dwordx2 v[7:8], v[13:14], off
	s_and_saveexec_b32 s5, s4
	s_cbranch_execz .LBB5_427
; %bb.424:
	v_mov_b32_e32 v11, 0
	s_clause 0x2
	global_load_dwordx2 v[2:3], v11, s[26:27] offset:40
	global_load_dwordx2 v[12:13], v11, s[26:27] offset:24 glc dlc
	global_load_dwordx2 v[9:10], v11, s[26:27]
	s_waitcnt vmcnt(2)
	v_add_co_u32 v14, vcc_lo, v2, 1
	v_add_co_ci_u32_e32 v15, vcc_lo, 0, v3, vcc_lo
	v_add_co_u32 v0, vcc_lo, v14, s6
	v_add_co_ci_u32_e32 v1, vcc_lo, s7, v15, vcc_lo
	v_cmp_eq_u64_e32 vcc_lo, 0, v[0:1]
	v_cndmask_b32_e32 v1, v1, v15, vcc_lo
	v_cndmask_b32_e32 v0, v0, v14, vcc_lo
	v_and_b32_e32 v3, v1, v3
	v_and_b32_e32 v2, v0, v2
	v_mul_lo_u32 v3, v3, 24
	v_mul_hi_u32 v14, v2, 24
	v_mul_lo_u32 v2, v2, 24
	v_add_nc_u32_e32 v3, v14, v3
	s_waitcnt vmcnt(0)
	v_add_co_u32 v9, vcc_lo, v9, v2
	v_mov_b32_e32 v2, v12
	v_add_co_ci_u32_e32 v10, vcc_lo, v10, v3, vcc_lo
	v_mov_b32_e32 v3, v13
	global_store_dwordx2 v[9:10], v[12:13], off
	s_waitcnt_vscnt null, 0x0
	global_atomic_cmpswap_x2 v[2:3], v11, v[0:3], s[26:27] offset:24 glc
	s_waitcnt vmcnt(0)
	v_cmp_ne_u64_e32 vcc_lo, v[2:3], v[12:13]
	s_and_b32 exec_lo, exec_lo, vcc_lo
	s_cbranch_execz .LBB5_427
; %bb.425:
	s_mov_b32 s4, 0
.LBB5_426:                              ; =>This Inner Loop Header: Depth=1
	s_sleep 1
	global_store_dwordx2 v[9:10], v[2:3], off
	s_waitcnt_vscnt null, 0x0
	global_atomic_cmpswap_x2 v[12:13], v11, v[0:3], s[26:27] offset:24 glc
	s_waitcnt vmcnt(0)
	v_cmp_eq_u64_e32 vcc_lo, v[12:13], v[2:3]
	v_mov_b32_e32 v2, v12
	v_mov_b32_e32 v3, v13
	s_or_b32 s4, vcc_lo, s4
	s_andn2_b32 exec_lo, exec_lo, s4
	s_cbranch_execnz .LBB5_426
.LBB5_427:
	s_or_b32 exec_lo, exec_lo, s5
	s_and_b32 vcc_lo, exec_lo, s15
	s_cbranch_vccz .LBB5_506
; %bb.428:
	s_waitcnt vmcnt(0)
	v_and_b32_e32 v31, 2, v7
	v_mov_b32_e32 v10, 0
	v_and_b32_e32 v0, -3, v7
	v_mov_b32_e32 v1, v8
	v_mov_b32_e32 v11, 2
	;; [unrolled: 1-line block ×3, first 2 shown]
	s_mov_b64 s[10:11], 3
	s_getpc_b64 s[6:7]
	s_add_u32 s6, s6, .str.8@rel32@lo+4
	s_addc_u32 s7, s7, .str.8@rel32@hi+12
	s_branch .LBB5_430
.LBB5_429:                              ;   in Loop: Header=BB5_430 Depth=1
	s_or_b32 exec_lo, exec_lo, s5
	s_sub_u32 s10, s10, s16
	s_subb_u32 s11, s11, s17
	s_add_u32 s6, s6, s16
	s_addc_u32 s7, s7, s17
	s_cmp_lg_u64 s[10:11], 0
	s_cbranch_scc0 .LBB5_505
.LBB5_430:                              ; =>This Loop Header: Depth=1
                                        ;     Child Loop BB5_439 Depth 2
                                        ;     Child Loop BB5_435 Depth 2
                                        ;     Child Loop BB5_447 Depth 2
                                        ;     Child Loop BB5_454 Depth 2
                                        ;     Child Loop BB5_461 Depth 2
                                        ;     Child Loop BB5_468 Depth 2
                                        ;     Child Loop BB5_475 Depth 2
                                        ;     Child Loop BB5_482 Depth 2
                                        ;     Child Loop BB5_490 Depth 2
                                        ;     Child Loop BB5_499 Depth 2
                                        ;     Child Loop BB5_504 Depth 2
	v_cmp_lt_u64_e64 s4, s[10:11], 56
	v_cmp_gt_u64_e64 s5, s[10:11], 7
                                        ; implicit-def: $vgpr2_vgpr3
                                        ; implicit-def: $sgpr22
	s_and_b32 s4, s4, exec_lo
	s_cselect_b32 s17, s11, 0
	s_cselect_b32 s16, s10, 56
	s_and_b32 vcc_lo, exec_lo, s5
	s_mov_b32 s4, -1
	s_cbranch_vccz .LBB5_437
; %bb.431:                              ;   in Loop: Header=BB5_430 Depth=1
	s_andn2_b32 vcc_lo, exec_lo, s4
	s_mov_b64 s[4:5], s[6:7]
	s_cbranch_vccz .LBB5_441
.LBB5_432:                              ;   in Loop: Header=BB5_430 Depth=1
	s_cmp_gt_u32 s22, 7
	s_cbranch_scc1 .LBB5_442
.LBB5_433:                              ;   in Loop: Header=BB5_430 Depth=1
	v_mov_b32_e32 v13, 0
	v_mov_b32_e32 v14, 0
	s_cmp_eq_u32 s22, 0
	s_cbranch_scc1 .LBB5_436
; %bb.434:                              ;   in Loop: Header=BB5_430 Depth=1
	s_mov_b64 s[18:19], 0
	s_mov_b64 s[20:21], 0
.LBB5_435:                              ;   Parent Loop BB5_430 Depth=1
                                        ; =>  This Inner Loop Header: Depth=2
	s_add_u32 s24, s4, s20
	s_addc_u32 s25, s5, s21
	s_add_u32 s20, s20, 1
	global_load_ubyte v9, v10, s[24:25]
	s_addc_u32 s21, s21, 0
	s_waitcnt vmcnt(0)
	v_and_b32_e32 v9, 0xffff, v9
	v_lshlrev_b64 v[15:16], s18, v[9:10]
	s_add_u32 s18, s18, 8
	s_addc_u32 s19, s19, 0
	s_cmp_lg_u32 s22, s20
	v_or_b32_e32 v13, v15, v13
	v_or_b32_e32 v14, v16, v14
	s_cbranch_scc1 .LBB5_435
.LBB5_436:                              ;   in Loop: Header=BB5_430 Depth=1
	s_mov_b32 s23, 0
	s_cbranch_execz .LBB5_443
	s_branch .LBB5_444
.LBB5_437:                              ;   in Loop: Header=BB5_430 Depth=1
	s_waitcnt vmcnt(0)
	v_mov_b32_e32 v2, 0
	v_mov_b32_e32 v3, 0
	s_cmp_eq_u64 s[10:11], 0
	s_mov_b64 s[4:5], 0
	s_cbranch_scc1 .LBB5_440
; %bb.438:                              ;   in Loop: Header=BB5_430 Depth=1
	v_mov_b32_e32 v2, 0
	v_mov_b32_e32 v3, 0
	s_lshl_b64 s[18:19], s[16:17], 3
	s_mov_b64 s[20:21], s[6:7]
.LBB5_439:                              ;   Parent Loop BB5_430 Depth=1
                                        ; =>  This Inner Loop Header: Depth=2
	global_load_ubyte v9, v10, s[20:21]
	s_waitcnt vmcnt(0)
	v_and_b32_e32 v9, 0xffff, v9
	v_lshlrev_b64 v[13:14], s4, v[9:10]
	s_add_u32 s4, s4, 8
	s_addc_u32 s5, s5, 0
	s_add_u32 s20, s20, 1
	s_addc_u32 s21, s21, 0
	s_cmp_lg_u32 s18, s4
	v_or_b32_e32 v2, v13, v2
	v_or_b32_e32 v3, v14, v3
	s_cbranch_scc1 .LBB5_439
.LBB5_440:                              ;   in Loop: Header=BB5_430 Depth=1
	s_mov_b32 s22, 0
	s_mov_b64 s[4:5], s[6:7]
	s_cbranch_execnz .LBB5_432
.LBB5_441:                              ;   in Loop: Header=BB5_430 Depth=1
	global_load_dwordx2 v[2:3], v10, s[6:7]
	s_add_i32 s22, s16, -8
	s_add_u32 s4, s6, 8
	s_addc_u32 s5, s7, 0
	s_cmp_gt_u32 s22, 7
	s_cbranch_scc0 .LBB5_433
.LBB5_442:                              ;   in Loop: Header=BB5_430 Depth=1
                                        ; implicit-def: $vgpr13_vgpr14
                                        ; implicit-def: $sgpr23
.LBB5_443:                              ;   in Loop: Header=BB5_430 Depth=1
	global_load_dwordx2 v[13:14], v10, s[4:5]
	s_add_i32 s23, s22, -8
	s_add_u32 s4, s4, 8
	s_addc_u32 s5, s5, 0
.LBB5_444:                              ;   in Loop: Header=BB5_430 Depth=1
	s_cmp_gt_u32 s23, 7
	s_cbranch_scc1 .LBB5_449
; %bb.445:                              ;   in Loop: Header=BB5_430 Depth=1
	v_mov_b32_e32 v15, 0
	v_mov_b32_e32 v16, 0
	s_cmp_eq_u32 s23, 0
	s_cbranch_scc1 .LBB5_448
; %bb.446:                              ;   in Loop: Header=BB5_430 Depth=1
	s_mov_b64 s[18:19], 0
	s_mov_b64 s[20:21], 0
.LBB5_447:                              ;   Parent Loop BB5_430 Depth=1
                                        ; =>  This Inner Loop Header: Depth=2
	s_add_u32 s24, s4, s20
	s_addc_u32 s25, s5, s21
	s_add_u32 s20, s20, 1
	global_load_ubyte v9, v10, s[24:25]
	s_addc_u32 s21, s21, 0
	s_waitcnt vmcnt(0)
	v_and_b32_e32 v9, 0xffff, v9
	v_lshlrev_b64 v[17:18], s18, v[9:10]
	s_add_u32 s18, s18, 8
	s_addc_u32 s19, s19, 0
	s_cmp_lg_u32 s23, s20
	v_or_b32_e32 v15, v17, v15
	v_or_b32_e32 v16, v18, v16
	s_cbranch_scc1 .LBB5_447
.LBB5_448:                              ;   in Loop: Header=BB5_430 Depth=1
	s_mov_b32 s22, 0
	s_cbranch_execz .LBB5_450
	s_branch .LBB5_451
.LBB5_449:                              ;   in Loop: Header=BB5_430 Depth=1
                                        ; implicit-def: $sgpr22
.LBB5_450:                              ;   in Loop: Header=BB5_430 Depth=1
	global_load_dwordx2 v[15:16], v10, s[4:5]
	s_add_i32 s22, s23, -8
	s_add_u32 s4, s4, 8
	s_addc_u32 s5, s5, 0
.LBB5_451:                              ;   in Loop: Header=BB5_430 Depth=1
	s_cmp_gt_u32 s22, 7
	s_cbranch_scc1 .LBB5_456
; %bb.452:                              ;   in Loop: Header=BB5_430 Depth=1
	v_mov_b32_e32 v17, 0
	v_mov_b32_e32 v18, 0
	s_cmp_eq_u32 s22, 0
	s_cbranch_scc1 .LBB5_455
; %bb.453:                              ;   in Loop: Header=BB5_430 Depth=1
	s_mov_b64 s[18:19], 0
	s_mov_b64 s[20:21], 0
.LBB5_454:                              ;   Parent Loop BB5_430 Depth=1
                                        ; =>  This Inner Loop Header: Depth=2
	s_add_u32 s24, s4, s20
	s_addc_u32 s25, s5, s21
	s_add_u32 s20, s20, 1
	global_load_ubyte v9, v10, s[24:25]
	s_addc_u32 s21, s21, 0
	s_waitcnt vmcnt(0)
	v_and_b32_e32 v9, 0xffff, v9
	v_lshlrev_b64 v[19:20], s18, v[9:10]
	s_add_u32 s18, s18, 8
	s_addc_u32 s19, s19, 0
	s_cmp_lg_u32 s22, s20
	v_or_b32_e32 v17, v19, v17
	v_or_b32_e32 v18, v20, v18
	s_cbranch_scc1 .LBB5_454
.LBB5_455:                              ;   in Loop: Header=BB5_430 Depth=1
	s_mov_b32 s23, 0
	s_cbranch_execz .LBB5_457
	s_branch .LBB5_458
.LBB5_456:                              ;   in Loop: Header=BB5_430 Depth=1
                                        ; implicit-def: $vgpr17_vgpr18
                                        ; implicit-def: $sgpr23
.LBB5_457:                              ;   in Loop: Header=BB5_430 Depth=1
	global_load_dwordx2 v[17:18], v10, s[4:5]
	s_add_i32 s23, s22, -8
	s_add_u32 s4, s4, 8
	s_addc_u32 s5, s5, 0
.LBB5_458:                              ;   in Loop: Header=BB5_430 Depth=1
	s_cmp_gt_u32 s23, 7
	s_cbranch_scc1 .LBB5_463
; %bb.459:                              ;   in Loop: Header=BB5_430 Depth=1
	v_mov_b32_e32 v19, 0
	v_mov_b32_e32 v20, 0
	s_cmp_eq_u32 s23, 0
	s_cbranch_scc1 .LBB5_462
; %bb.460:                              ;   in Loop: Header=BB5_430 Depth=1
	s_mov_b64 s[18:19], 0
	s_mov_b64 s[20:21], 0
.LBB5_461:                              ;   Parent Loop BB5_430 Depth=1
                                        ; =>  This Inner Loop Header: Depth=2
	s_add_u32 s24, s4, s20
	s_addc_u32 s25, s5, s21
	s_add_u32 s20, s20, 1
	global_load_ubyte v9, v10, s[24:25]
	s_addc_u32 s21, s21, 0
	s_waitcnt vmcnt(0)
	v_and_b32_e32 v9, 0xffff, v9
	v_lshlrev_b64 v[21:22], s18, v[9:10]
	s_add_u32 s18, s18, 8
	s_addc_u32 s19, s19, 0
	s_cmp_lg_u32 s23, s20
	v_or_b32_e32 v19, v21, v19
	v_or_b32_e32 v20, v22, v20
	s_cbranch_scc1 .LBB5_461
.LBB5_462:                              ;   in Loop: Header=BB5_430 Depth=1
	s_mov_b32 s22, 0
	s_cbranch_execz .LBB5_464
	s_branch .LBB5_465
.LBB5_463:                              ;   in Loop: Header=BB5_430 Depth=1
                                        ; implicit-def: $sgpr22
.LBB5_464:                              ;   in Loop: Header=BB5_430 Depth=1
	global_load_dwordx2 v[19:20], v10, s[4:5]
	s_add_i32 s22, s23, -8
	s_add_u32 s4, s4, 8
	s_addc_u32 s5, s5, 0
.LBB5_465:                              ;   in Loop: Header=BB5_430 Depth=1
	s_cmp_gt_u32 s22, 7
	s_cbranch_scc1 .LBB5_470
; %bb.466:                              ;   in Loop: Header=BB5_430 Depth=1
	v_mov_b32_e32 v21, 0
	v_mov_b32_e32 v22, 0
	s_cmp_eq_u32 s22, 0
	s_cbranch_scc1 .LBB5_469
; %bb.467:                              ;   in Loop: Header=BB5_430 Depth=1
	s_mov_b64 s[18:19], 0
	s_mov_b64 s[20:21], 0
.LBB5_468:                              ;   Parent Loop BB5_430 Depth=1
                                        ; =>  This Inner Loop Header: Depth=2
	s_add_u32 s24, s4, s20
	s_addc_u32 s25, s5, s21
	s_add_u32 s20, s20, 1
	global_load_ubyte v9, v10, s[24:25]
	s_addc_u32 s21, s21, 0
	s_waitcnt vmcnt(0)
	v_and_b32_e32 v9, 0xffff, v9
	v_lshlrev_b64 v[23:24], s18, v[9:10]
	s_add_u32 s18, s18, 8
	s_addc_u32 s19, s19, 0
	s_cmp_lg_u32 s22, s20
	v_or_b32_e32 v21, v23, v21
	v_or_b32_e32 v22, v24, v22
	s_cbranch_scc1 .LBB5_468
.LBB5_469:                              ;   in Loop: Header=BB5_430 Depth=1
	s_mov_b32 s23, 0
	s_cbranch_execz .LBB5_471
	s_branch .LBB5_472
.LBB5_470:                              ;   in Loop: Header=BB5_430 Depth=1
                                        ; implicit-def: $vgpr21_vgpr22
                                        ; implicit-def: $sgpr23
.LBB5_471:                              ;   in Loop: Header=BB5_430 Depth=1
	global_load_dwordx2 v[21:22], v10, s[4:5]
	s_add_i32 s23, s22, -8
	s_add_u32 s4, s4, 8
	s_addc_u32 s5, s5, 0
.LBB5_472:                              ;   in Loop: Header=BB5_430 Depth=1
	s_cmp_gt_u32 s23, 7
	s_cbranch_scc1 .LBB5_477
; %bb.473:                              ;   in Loop: Header=BB5_430 Depth=1
	v_mov_b32_e32 v23, 0
	v_mov_b32_e32 v24, 0
	s_cmp_eq_u32 s23, 0
	s_cbranch_scc1 .LBB5_476
; %bb.474:                              ;   in Loop: Header=BB5_430 Depth=1
	s_mov_b64 s[18:19], 0
	s_mov_b64 s[20:21], s[4:5]
.LBB5_475:                              ;   Parent Loop BB5_430 Depth=1
                                        ; =>  This Inner Loop Header: Depth=2
	global_load_ubyte v9, v10, s[20:21]
	s_add_i32 s23, s23, -1
	s_waitcnt vmcnt(0)
	v_and_b32_e32 v9, 0xffff, v9
	v_lshlrev_b64 v[25:26], s18, v[9:10]
	s_add_u32 s18, s18, 8
	s_addc_u32 s19, s19, 0
	s_add_u32 s20, s20, 1
	s_addc_u32 s21, s21, 0
	s_cmp_lg_u32 s23, 0
	v_or_b32_e32 v23, v25, v23
	v_or_b32_e32 v24, v26, v24
	s_cbranch_scc1 .LBB5_475
.LBB5_476:                              ;   in Loop: Header=BB5_430 Depth=1
	s_cbranch_execz .LBB5_478
	s_branch .LBB5_479
.LBB5_477:                              ;   in Loop: Header=BB5_430 Depth=1
.LBB5_478:                              ;   in Loop: Header=BB5_430 Depth=1
	global_load_dwordx2 v[23:24], v10, s[4:5]
.LBB5_479:                              ;   in Loop: Header=BB5_430 Depth=1
	v_readfirstlane_b32 s4, v49
	v_mov_b32_e32 v29, 0
	v_mov_b32_e32 v30, 0
	v_cmp_eq_u32_e64 s4, s4, v49
	s_and_saveexec_b32 s5, s4
	s_cbranch_execz .LBB5_485
; %bb.480:                              ;   in Loop: Header=BB5_430 Depth=1
	global_load_dwordx2 v[27:28], v10, s[26:27] offset:24 glc dlc
	s_waitcnt vmcnt(0)
	buffer_gl1_inv
	buffer_gl0_inv
	s_clause 0x1
	global_load_dwordx2 v[25:26], v10, s[26:27] offset:40
	global_load_dwordx2 v[29:30], v10, s[26:27]
	s_mov_b32 s18, exec_lo
	s_waitcnt vmcnt(1)
	v_and_b32_e32 v9, v26, v28
	v_and_b32_e32 v25, v25, v27
	v_mul_lo_u32 v9, v9, 24
	v_mul_hi_u32 v26, v25, 24
	v_mul_lo_u32 v25, v25, 24
	v_add_nc_u32_e32 v9, v26, v9
	s_waitcnt vmcnt(0)
	v_add_co_u32 v25, vcc_lo, v29, v25
	v_add_co_ci_u32_e32 v26, vcc_lo, v30, v9, vcc_lo
	global_load_dwordx2 v[25:26], v[25:26], off glc dlc
	s_waitcnt vmcnt(0)
	global_atomic_cmpswap_x2 v[29:30], v10, v[25:28], s[26:27] offset:24 glc
	s_waitcnt vmcnt(0)
	buffer_gl1_inv
	buffer_gl0_inv
	v_cmpx_ne_u64_e64 v[29:30], v[27:28]
	s_cbranch_execz .LBB5_484
; %bb.481:                              ;   in Loop: Header=BB5_430 Depth=1
	s_mov_b32 s19, 0
	.p2align	6
.LBB5_482:                              ;   Parent Loop BB5_430 Depth=1
                                        ; =>  This Inner Loop Header: Depth=2
	s_sleep 1
	s_clause 0x1
	global_load_dwordx2 v[25:26], v10, s[26:27] offset:40
	global_load_dwordx2 v[32:33], v10, s[26:27]
	v_mov_b32_e32 v27, v29
	v_mov_b32_e32 v28, v30
	s_waitcnt vmcnt(1)
	v_and_b32_e32 v9, v25, v27
	v_and_b32_e32 v25, v26, v28
	s_waitcnt vmcnt(0)
	v_mad_u64_u32 v[29:30], null, v9, 24, v[32:33]
	v_mov_b32_e32 v9, v30
	v_mad_u64_u32 v[25:26], null, v25, 24, v[9:10]
	v_mov_b32_e32 v30, v25
	global_load_dwordx2 v[25:26], v[29:30], off glc dlc
	s_waitcnt vmcnt(0)
	global_atomic_cmpswap_x2 v[29:30], v10, v[25:28], s[26:27] offset:24 glc
	s_waitcnt vmcnt(0)
	buffer_gl1_inv
	buffer_gl0_inv
	v_cmp_eq_u64_e32 vcc_lo, v[29:30], v[27:28]
	s_or_b32 s19, vcc_lo, s19
	s_andn2_b32 exec_lo, exec_lo, s19
	s_cbranch_execnz .LBB5_482
; %bb.483:                              ;   in Loop: Header=BB5_430 Depth=1
	s_or_b32 exec_lo, exec_lo, s19
.LBB5_484:                              ;   in Loop: Header=BB5_430 Depth=1
	s_or_b32 exec_lo, exec_lo, s18
.LBB5_485:                              ;   in Loop: Header=BB5_430 Depth=1
	s_or_b32 exec_lo, exec_lo, s5
	s_clause 0x1
	global_load_dwordx2 v[32:33], v10, s[26:27] offset:40
	global_load_dwordx4 v[25:28], v10, s[26:27]
	v_readfirstlane_b32 s18, v29
	v_readfirstlane_b32 s19, v30
	s_mov_b32 s5, exec_lo
	s_waitcnt vmcnt(1)
	v_readfirstlane_b32 s20, v32
	v_readfirstlane_b32 s21, v33
	s_and_b64 s[20:21], s[18:19], s[20:21]
	s_mul_i32 s22, s21, 24
	s_mul_hi_u32 s23, s20, 24
	s_mul_i32 s24, s20, 24
	s_add_i32 s23, s23, s22
	s_waitcnt vmcnt(0)
	v_add_co_u32 v29, vcc_lo, v25, s24
	v_add_co_ci_u32_e32 v30, vcc_lo, s23, v26, vcc_lo
	s_and_saveexec_b32 s22, s4
	s_cbranch_execz .LBB5_487
; %bb.486:                              ;   in Loop: Header=BB5_430 Depth=1
	v_mov_b32_e32 v9, s5
	global_store_dwordx4 v[29:30], v[9:12], off offset:8
.LBB5_487:                              ;   in Loop: Header=BB5_430 Depth=1
	s_or_b32 exec_lo, exec_lo, s22
	s_lshl_b64 s[20:21], s[20:21], 12
	v_cmp_gt_u64_e64 vcc_lo, s[10:11], 56
	v_or_b32_e32 v32, v0, v31
	v_add_co_u32 v27, s5, v27, s20
	v_add_co_ci_u32_e64 v28, s5, s21, v28, s5
	s_lshl_b32 s5, s16, 2
	v_or_b32_e32 v9, 0, v1
	v_cndmask_b32_e32 v0, v32, v0, vcc_lo
	s_add_i32 s5, s5, 28
	v_readfirstlane_b32 s20, v27
	s_and_b32 s5, s5, 0x1e0
	v_cndmask_b32_e32 v1, v9, v1, vcc_lo
	v_readfirstlane_b32 s21, v28
	v_and_or_b32 v0, 0xffffff1f, v0, s5
	global_store_dwordx4 v48, v[0:3], s[20:21]
	global_store_dwordx4 v48, v[13:16], s[20:21] offset:16
	global_store_dwordx4 v48, v[17:20], s[20:21] offset:32
	;; [unrolled: 1-line block ×3, first 2 shown]
	s_and_saveexec_b32 s5, s4
	s_cbranch_execz .LBB5_495
; %bb.488:                              ;   in Loop: Header=BB5_430 Depth=1
	s_clause 0x1
	global_load_dwordx2 v[17:18], v10, s[26:27] offset:32 glc dlc
	global_load_dwordx2 v[0:1], v10, s[26:27] offset:40
	v_mov_b32_e32 v15, s18
	v_mov_b32_e32 v16, s19
	s_waitcnt vmcnt(0)
	v_readfirstlane_b32 s20, v0
	v_readfirstlane_b32 s21, v1
	s_and_b64 s[20:21], s[20:21], s[18:19]
	s_mul_i32 s21, s21, 24
	s_mul_hi_u32 s22, s20, 24
	s_mul_i32 s20, s20, 24
	s_add_i32 s22, s22, s21
	v_add_co_u32 v13, vcc_lo, v25, s20
	v_add_co_ci_u32_e32 v14, vcc_lo, s22, v26, vcc_lo
	s_mov_b32 s20, exec_lo
	global_store_dwordx2 v[13:14], v[17:18], off
	s_waitcnt_vscnt null, 0x0
	global_atomic_cmpswap_x2 v[2:3], v10, v[15:18], s[26:27] offset:32 glc
	s_waitcnt vmcnt(0)
	v_cmpx_ne_u64_e64 v[2:3], v[17:18]
	s_cbranch_execz .LBB5_491
; %bb.489:                              ;   in Loop: Header=BB5_430 Depth=1
	s_mov_b32 s21, 0
.LBB5_490:                              ;   Parent Loop BB5_430 Depth=1
                                        ; =>  This Inner Loop Header: Depth=2
	v_mov_b32_e32 v0, s18
	v_mov_b32_e32 v1, s19
	s_sleep 1
	global_store_dwordx2 v[13:14], v[2:3], off
	s_waitcnt_vscnt null, 0x0
	global_atomic_cmpswap_x2 v[0:1], v10, v[0:3], s[26:27] offset:32 glc
	s_waitcnt vmcnt(0)
	v_cmp_eq_u64_e32 vcc_lo, v[0:1], v[2:3]
	v_mov_b32_e32 v3, v1
	v_mov_b32_e32 v2, v0
	s_or_b32 s21, vcc_lo, s21
	s_andn2_b32 exec_lo, exec_lo, s21
	s_cbranch_execnz .LBB5_490
.LBB5_491:                              ;   in Loop: Header=BB5_430 Depth=1
	s_or_b32 exec_lo, exec_lo, s20
	global_load_dwordx2 v[0:1], v10, s[26:27] offset:16
	s_mov_b32 s21, exec_lo
	s_mov_b32 s20, exec_lo
	v_mbcnt_lo_u32_b32 v2, s21, 0
	v_cmpx_eq_u32_e32 0, v2
	s_cbranch_execz .LBB5_493
; %bb.492:                              ;   in Loop: Header=BB5_430 Depth=1
	s_bcnt1_i32_b32 s21, s21
	v_mov_b32_e32 v9, s21
	s_waitcnt vmcnt(0)
	global_atomic_add_x2 v[0:1], v[9:10], off offset:8
.LBB5_493:                              ;   in Loop: Header=BB5_430 Depth=1
	s_or_b32 exec_lo, exec_lo, s20
	s_waitcnt vmcnt(0)
	global_load_dwordx2 v[2:3], v[0:1], off offset:16
	s_waitcnt vmcnt(0)
	v_cmp_eq_u64_e32 vcc_lo, 0, v[2:3]
	s_cbranch_vccnz .LBB5_495
; %bb.494:                              ;   in Loop: Header=BB5_430 Depth=1
	global_load_dword v9, v[0:1], off offset:24
	s_waitcnt vmcnt(0)
	v_and_b32_e32 v0, 0x7fffff, v9
	s_waitcnt_vscnt null, 0x0
	global_store_dwordx2 v[2:3], v[9:10], off
	v_readfirstlane_b32 m0, v0
	s_sendmsg sendmsg(MSG_INTERRUPT)
.LBB5_495:                              ;   in Loop: Header=BB5_430 Depth=1
	s_or_b32 exec_lo, exec_lo, s5
	v_add_co_u32 v0, vcc_lo, v27, v48
	v_add_co_ci_u32_e32 v1, vcc_lo, 0, v28, vcc_lo
	s_branch .LBB5_499
	.p2align	6
.LBB5_496:                              ;   in Loop: Header=BB5_499 Depth=2
	s_or_b32 exec_lo, exec_lo, s5
	v_readfirstlane_b32 s5, v2
	s_cmp_eq_u32 s5, 0
	s_cbranch_scc1 .LBB5_498
; %bb.497:                              ;   in Loop: Header=BB5_499 Depth=2
	s_sleep 1
	s_cbranch_execnz .LBB5_499
	s_branch .LBB5_501
	.p2align	6
.LBB5_498:                              ;   in Loop: Header=BB5_430 Depth=1
	s_branch .LBB5_501
.LBB5_499:                              ;   Parent Loop BB5_430 Depth=1
                                        ; =>  This Inner Loop Header: Depth=2
	v_mov_b32_e32 v2, 1
	s_and_saveexec_b32 s5, s4
	s_cbranch_execz .LBB5_496
; %bb.500:                              ;   in Loop: Header=BB5_499 Depth=2
	global_load_dword v2, v[29:30], off offset:20 glc dlc
	s_waitcnt vmcnt(0)
	buffer_gl1_inv
	buffer_gl0_inv
	v_and_b32_e32 v2, 1, v2
	s_branch .LBB5_496
.LBB5_501:                              ;   in Loop: Header=BB5_430 Depth=1
	global_load_dwordx4 v[0:3], v[0:1], off
	s_and_saveexec_b32 s5, s4
	s_cbranch_execz .LBB5_429
; %bb.502:                              ;   in Loop: Header=BB5_430 Depth=1
	s_clause 0x2
	global_load_dwordx2 v[2:3], v10, s[26:27] offset:40
	global_load_dwordx2 v[17:18], v10, s[26:27] offset:24 glc dlc
	global_load_dwordx2 v[15:16], v10, s[26:27]
	s_waitcnt vmcnt(2)
	v_add_co_u32 v9, vcc_lo, v2, 1
	v_add_co_ci_u32_e32 v19, vcc_lo, 0, v3, vcc_lo
	v_add_co_u32 v13, vcc_lo, v9, s18
	v_add_co_ci_u32_e32 v14, vcc_lo, s19, v19, vcc_lo
	v_cmp_eq_u64_e32 vcc_lo, 0, v[13:14]
	v_cndmask_b32_e32 v14, v14, v19, vcc_lo
	v_cndmask_b32_e32 v13, v13, v9, vcc_lo
	v_and_b32_e32 v3, v14, v3
	v_and_b32_e32 v2, v13, v2
	v_mul_lo_u32 v3, v3, 24
	v_mul_hi_u32 v9, v2, 24
	v_mul_lo_u32 v2, v2, 24
	v_add_nc_u32_e32 v3, v9, v3
	s_waitcnt vmcnt(0)
	v_add_co_u32 v2, vcc_lo, v15, v2
	v_mov_b32_e32 v15, v17
	v_add_co_ci_u32_e32 v3, vcc_lo, v16, v3, vcc_lo
	v_mov_b32_e32 v16, v18
	global_store_dwordx2 v[2:3], v[17:18], off
	s_waitcnt_vscnt null, 0x0
	global_atomic_cmpswap_x2 v[15:16], v10, v[13:16], s[26:27] offset:24 glc
	s_waitcnt vmcnt(0)
	v_cmp_ne_u64_e32 vcc_lo, v[15:16], v[17:18]
	s_and_b32 exec_lo, exec_lo, vcc_lo
	s_cbranch_execz .LBB5_429
; %bb.503:                              ;   in Loop: Header=BB5_430 Depth=1
	s_mov_b32 s4, 0
.LBB5_504:                              ;   Parent Loop BB5_430 Depth=1
                                        ; =>  This Inner Loop Header: Depth=2
	s_sleep 1
	global_store_dwordx2 v[2:3], v[15:16], off
	s_waitcnt_vscnt null, 0x0
	global_atomic_cmpswap_x2 v[17:18], v10, v[13:16], s[26:27] offset:24 glc
	s_waitcnt vmcnt(0)
	v_cmp_eq_u64_e32 vcc_lo, v[17:18], v[15:16]
	v_mov_b32_e32 v15, v17
	v_mov_b32_e32 v16, v18
	s_or_b32 s4, vcc_lo, s4
	s_andn2_b32 exec_lo, exec_lo, s4
	s_cbranch_execnz .LBB5_504
	s_branch .LBB5_429
.LBB5_505:
	s_branch .LBB5_534
.LBB5_506:
                                        ; implicit-def: $vgpr0_vgpr1
	s_cbranch_execz .LBB5_534
; %bb.507:
	v_readfirstlane_b32 s4, v49
	v_mov_b32_e32 v10, 0
	v_mov_b32_e32 v11, 0
	v_cmp_eq_u32_e64 s4, s4, v49
	s_and_saveexec_b32 s5, s4
	s_cbranch_execz .LBB5_513
; %bb.508:
	s_waitcnt vmcnt(0)
	v_mov_b32_e32 v0, 0
	s_mov_b32 s6, exec_lo
	global_load_dwordx2 v[12:13], v0, s[26:27] offset:24 glc dlc
	s_waitcnt vmcnt(0)
	buffer_gl1_inv
	buffer_gl0_inv
	s_clause 0x1
	global_load_dwordx2 v[1:2], v0, s[26:27] offset:40
	global_load_dwordx2 v[9:10], v0, s[26:27]
	s_waitcnt vmcnt(1)
	v_and_b32_e32 v2, v2, v13
	v_and_b32_e32 v1, v1, v12
	v_mul_lo_u32 v2, v2, 24
	v_mul_hi_u32 v3, v1, 24
	v_mul_lo_u32 v1, v1, 24
	v_add_nc_u32_e32 v2, v3, v2
	s_waitcnt vmcnt(0)
	v_add_co_u32 v1, vcc_lo, v9, v1
	v_add_co_ci_u32_e32 v2, vcc_lo, v10, v2, vcc_lo
	global_load_dwordx2 v[10:11], v[1:2], off glc dlc
	s_waitcnt vmcnt(0)
	global_atomic_cmpswap_x2 v[10:11], v0, v[10:13], s[26:27] offset:24 glc
	s_waitcnt vmcnt(0)
	buffer_gl1_inv
	buffer_gl0_inv
	v_cmpx_ne_u64_e64 v[10:11], v[12:13]
	s_cbranch_execz .LBB5_512
; %bb.509:
	s_mov_b32 s7, 0
	.p2align	6
.LBB5_510:                              ; =>This Inner Loop Header: Depth=1
	s_sleep 1
	s_clause 0x1
	global_load_dwordx2 v[1:2], v0, s[26:27] offset:40
	global_load_dwordx2 v[14:15], v0, s[26:27]
	v_mov_b32_e32 v13, v11
	v_mov_b32_e32 v12, v10
	s_waitcnt vmcnt(1)
	v_and_b32_e32 v1, v1, v12
	v_and_b32_e32 v2, v2, v13
	s_waitcnt vmcnt(0)
	v_mad_u64_u32 v[9:10], null, v1, 24, v[14:15]
	v_mov_b32_e32 v1, v10
	v_mad_u64_u32 v[1:2], null, v2, 24, v[1:2]
	v_mov_b32_e32 v10, v1
	global_load_dwordx2 v[10:11], v[9:10], off glc dlc
	s_waitcnt vmcnt(0)
	global_atomic_cmpswap_x2 v[10:11], v0, v[10:13], s[26:27] offset:24 glc
	s_waitcnt vmcnt(0)
	buffer_gl1_inv
	buffer_gl0_inv
	v_cmp_eq_u64_e32 vcc_lo, v[10:11], v[12:13]
	s_or_b32 s7, vcc_lo, s7
	s_andn2_b32 exec_lo, exec_lo, s7
	s_cbranch_execnz .LBB5_510
; %bb.511:
	s_or_b32 exec_lo, exec_lo, s7
.LBB5_512:
	s_or_b32 exec_lo, exec_lo, s6
.LBB5_513:
	s_or_b32 exec_lo, exec_lo, s5
	v_mov_b32_e32 v9, 0
	v_readfirstlane_b32 s6, v10
	v_readfirstlane_b32 s7, v11
	s_mov_b32 s5, exec_lo
	s_clause 0x1
	global_load_dwordx2 v[12:13], v9, s[26:27] offset:40
	global_load_dwordx4 v[0:3], v9, s[26:27]
	s_waitcnt vmcnt(1)
	v_readfirstlane_b32 s10, v12
	v_readfirstlane_b32 s11, v13
	s_and_b64 s[10:11], s[6:7], s[10:11]
	s_mul_i32 s16, s11, 24
	s_mul_hi_u32 s17, s10, 24
	s_mul_i32 s18, s10, 24
	s_add_i32 s17, s17, s16
	s_waitcnt vmcnt(0)
	v_add_co_u32 v11, vcc_lo, v0, s18
	v_add_co_ci_u32_e32 v12, vcc_lo, s17, v1, vcc_lo
	s_and_saveexec_b32 s16, s4
	s_cbranch_execz .LBB5_515
; %bb.514:
	v_mov_b32_e32 v13, s5
	v_mov_b32_e32 v14, v9
	v_mov_b32_e32 v15, 2
	v_mov_b32_e32 v16, 1
	global_store_dwordx4 v[11:12], v[13:16], off offset:8
.LBB5_515:
	s_or_b32 exec_lo, exec_lo, s16
	s_lshl_b64 s[10:11], s[10:11], 12
	s_mov_b32 s16, 0
	v_add_co_u32 v2, vcc_lo, v2, s10
	v_add_co_ci_u32_e32 v3, vcc_lo, s11, v3, vcc_lo
	s_mov_b32 s17, s16
	v_add_co_u32 v13, vcc_lo, v2, v48
	s_mov_b32 s18, s16
	s_mov_b32 s19, s16
	v_and_or_b32 v7, 0xffffff1f, v7, 32
	v_mov_b32_e32 v10, v9
	v_readfirstlane_b32 s10, v2
	v_readfirstlane_b32 s11, v3
	v_mov_b32_e32 v15, s16
	v_add_co_ci_u32_e32 v14, vcc_lo, 0, v3, vcc_lo
	v_mov_b32_e32 v16, s17
	v_mov_b32_e32 v17, s18
	v_mov_b32_e32 v18, s19
	global_store_dwordx4 v48, v[7:10], s[10:11]
	global_store_dwordx4 v48, v[15:18], s[10:11] offset:16
	global_store_dwordx4 v48, v[15:18], s[10:11] offset:32
	;; [unrolled: 1-line block ×3, first 2 shown]
	s_and_saveexec_b32 s5, s4
	s_cbranch_execz .LBB5_523
; %bb.516:
	v_mov_b32_e32 v9, 0
	v_mov_b32_e32 v15, s6
	;; [unrolled: 1-line block ×3, first 2 shown]
	s_clause 0x1
	global_load_dwordx2 v[17:18], v9, s[26:27] offset:32 glc dlc
	global_load_dwordx2 v[2:3], v9, s[26:27] offset:40
	s_waitcnt vmcnt(0)
	v_readfirstlane_b32 s10, v2
	v_readfirstlane_b32 s11, v3
	s_and_b64 s[10:11], s[10:11], s[6:7]
	s_mul_i32 s11, s11, 24
	s_mul_hi_u32 s16, s10, 24
	s_mul_i32 s10, s10, 24
	s_add_i32 s16, s16, s11
	v_add_co_u32 v7, vcc_lo, v0, s10
	v_add_co_ci_u32_e32 v8, vcc_lo, s16, v1, vcc_lo
	s_mov_b32 s10, exec_lo
	global_store_dwordx2 v[7:8], v[17:18], off
	s_waitcnt_vscnt null, 0x0
	global_atomic_cmpswap_x2 v[2:3], v9, v[15:18], s[26:27] offset:32 glc
	s_waitcnt vmcnt(0)
	v_cmpx_ne_u64_e64 v[2:3], v[17:18]
	s_cbranch_execz .LBB5_519
; %bb.517:
	s_mov_b32 s11, 0
.LBB5_518:                              ; =>This Inner Loop Header: Depth=1
	v_mov_b32_e32 v0, s6
	v_mov_b32_e32 v1, s7
	s_sleep 1
	global_store_dwordx2 v[7:8], v[2:3], off
	s_waitcnt_vscnt null, 0x0
	global_atomic_cmpswap_x2 v[0:1], v9, v[0:3], s[26:27] offset:32 glc
	s_waitcnt vmcnt(0)
	v_cmp_eq_u64_e32 vcc_lo, v[0:1], v[2:3]
	v_mov_b32_e32 v3, v1
	v_mov_b32_e32 v2, v0
	s_or_b32 s11, vcc_lo, s11
	s_andn2_b32 exec_lo, exec_lo, s11
	s_cbranch_execnz .LBB5_518
.LBB5_519:
	s_or_b32 exec_lo, exec_lo, s10
	v_mov_b32_e32 v3, 0
	s_mov_b32 s11, exec_lo
	s_mov_b32 s10, exec_lo
	v_mbcnt_lo_u32_b32 v2, s11, 0
	global_load_dwordx2 v[0:1], v3, s[26:27] offset:16
	v_cmpx_eq_u32_e32 0, v2
	s_cbranch_execz .LBB5_521
; %bb.520:
	s_bcnt1_i32_b32 s11, s11
	v_mov_b32_e32 v2, s11
	s_waitcnt vmcnt(0)
	global_atomic_add_x2 v[0:1], v[2:3], off offset:8
.LBB5_521:
	s_or_b32 exec_lo, exec_lo, s10
	s_waitcnt vmcnt(0)
	global_load_dwordx2 v[2:3], v[0:1], off offset:16
	s_waitcnt vmcnt(0)
	v_cmp_eq_u64_e32 vcc_lo, 0, v[2:3]
	s_cbranch_vccnz .LBB5_523
; %bb.522:
	global_load_dword v0, v[0:1], off offset:24
	v_mov_b32_e32 v1, 0
	s_waitcnt vmcnt(0)
	v_and_b32_e32 v7, 0x7fffff, v0
	s_waitcnt_vscnt null, 0x0
	global_store_dwordx2 v[2:3], v[0:1], off
	v_readfirstlane_b32 m0, v7
	s_sendmsg sendmsg(MSG_INTERRUPT)
.LBB5_523:
	s_or_b32 exec_lo, exec_lo, s5
	s_branch .LBB5_527
	.p2align	6
.LBB5_524:                              ;   in Loop: Header=BB5_527 Depth=1
	s_or_b32 exec_lo, exec_lo, s5
	v_readfirstlane_b32 s5, v0
	s_cmp_eq_u32 s5, 0
	s_cbranch_scc1 .LBB5_526
; %bb.525:                              ;   in Loop: Header=BB5_527 Depth=1
	s_sleep 1
	s_cbranch_execnz .LBB5_527
	s_branch .LBB5_529
	.p2align	6
.LBB5_526:
	s_branch .LBB5_529
.LBB5_527:                              ; =>This Inner Loop Header: Depth=1
	v_mov_b32_e32 v0, 1
	s_and_saveexec_b32 s5, s4
	s_cbranch_execz .LBB5_524
; %bb.528:                              ;   in Loop: Header=BB5_527 Depth=1
	global_load_dword v0, v[11:12], off offset:20 glc dlc
	s_waitcnt vmcnt(0)
	buffer_gl1_inv
	buffer_gl0_inv
	v_and_b32_e32 v0, 1, v0
	s_branch .LBB5_524
.LBB5_529:
	global_load_dwordx2 v[0:1], v[13:14], off
	s_and_saveexec_b32 s5, s4
	s_cbranch_execz .LBB5_533
; %bb.530:
	v_mov_b32_e32 v11, 0
	s_clause 0x2
	global_load_dwordx2 v[2:3], v11, s[26:27] offset:40
	global_load_dwordx2 v[12:13], v11, s[26:27] offset:24 glc dlc
	global_load_dwordx2 v[9:10], v11, s[26:27]
	s_waitcnt vmcnt(2)
	v_add_co_u32 v14, vcc_lo, v2, 1
	v_add_co_ci_u32_e32 v15, vcc_lo, 0, v3, vcc_lo
	v_add_co_u32 v7, vcc_lo, v14, s6
	v_add_co_ci_u32_e32 v8, vcc_lo, s7, v15, vcc_lo
	v_cmp_eq_u64_e32 vcc_lo, 0, v[7:8]
	v_cndmask_b32_e32 v8, v8, v15, vcc_lo
	v_cndmask_b32_e32 v7, v7, v14, vcc_lo
	v_and_b32_e32 v3, v8, v3
	v_and_b32_e32 v2, v7, v2
	v_mul_lo_u32 v3, v3, 24
	v_mul_hi_u32 v14, v2, 24
	v_mul_lo_u32 v2, v2, 24
	v_add_nc_u32_e32 v3, v14, v3
	s_waitcnt vmcnt(0)
	v_add_co_u32 v2, vcc_lo, v9, v2
	v_mov_b32_e32 v9, v12
	v_add_co_ci_u32_e32 v3, vcc_lo, v10, v3, vcc_lo
	v_mov_b32_e32 v10, v13
	global_store_dwordx2 v[2:3], v[12:13], off
	s_waitcnt_vscnt null, 0x0
	global_atomic_cmpswap_x2 v[9:10], v11, v[7:10], s[26:27] offset:24 glc
	s_waitcnt vmcnt(0)
	v_cmp_ne_u64_e32 vcc_lo, v[9:10], v[12:13]
	s_and_b32 exec_lo, exec_lo, vcc_lo
	s_cbranch_execz .LBB5_533
; %bb.531:
	s_mov_b32 s4, 0
.LBB5_532:                              ; =>This Inner Loop Header: Depth=1
	s_sleep 1
	global_store_dwordx2 v[2:3], v[9:10], off
	s_waitcnt_vscnt null, 0x0
	global_atomic_cmpswap_x2 v[12:13], v11, v[7:10], s[26:27] offset:24 glc
	s_waitcnt vmcnt(0)
	v_cmp_eq_u64_e32 vcc_lo, v[12:13], v[9:10]
	v_mov_b32_e32 v9, v12
	v_mov_b32_e32 v10, v13
	s_or_b32 s4, vcc_lo, s4
	s_andn2_b32 exec_lo, exec_lo, s4
	s_cbranch_execnz .LBB5_532
.LBB5_533:
	s_or_b32 exec_lo, exec_lo, s5
.LBB5_534:
	s_getpc_b64 s[6:7]
	s_add_u32 s6, s6, .str.1@rel32@lo+4
	s_addc_u32 s7, s7, .str.1@rel32@hi+12
	s_cmp_lg_u64 s[6:7], 0
	s_cbranch_scc0 .LBB5_613
; %bb.535:
	s_waitcnt vmcnt(0)
	v_and_b32_e32 v11, -3, v0
	v_mov_b32_e32 v12, v1
	v_mov_b32_e32 v8, 0
	;; [unrolled: 1-line block ×4, first 2 shown]
	s_mov_b64 s[10:11], 0x4f
	s_branch .LBB5_537
.LBB5_536:                              ;   in Loop: Header=BB5_537 Depth=1
	s_or_b32 exec_lo, exec_lo, s5
	s_sub_u32 s10, s10, s16
	s_subb_u32 s11, s11, s17
	s_add_u32 s6, s6, s16
	s_addc_u32 s7, s7, s17
	s_cmp_lg_u64 s[10:11], 0
	s_cbranch_scc0 .LBB5_612
.LBB5_537:                              ; =>This Loop Header: Depth=1
                                        ;     Child Loop BB5_546 Depth 2
                                        ;     Child Loop BB5_542 Depth 2
	;; [unrolled: 1-line block ×11, first 2 shown]
	v_cmp_lt_u64_e64 s4, s[10:11], 56
	v_cmp_gt_u64_e64 s5, s[10:11], 7
                                        ; implicit-def: $sgpr22
	s_and_b32 s4, s4, exec_lo
	s_cselect_b32 s17, s11, 0
	s_cselect_b32 s16, s10, 56
	s_and_b32 vcc_lo, exec_lo, s5
	s_mov_b32 s4, -1
	s_cbranch_vccz .LBB5_544
; %bb.538:                              ;   in Loop: Header=BB5_537 Depth=1
	s_andn2_b32 vcc_lo, exec_lo, s4
	s_mov_b64 s[4:5], s[6:7]
	s_cbranch_vccz .LBB5_548
.LBB5_539:                              ;   in Loop: Header=BB5_537 Depth=1
	s_cmp_gt_u32 s22, 7
	s_cbranch_scc1 .LBB5_549
.LBB5_540:                              ;   in Loop: Header=BB5_537 Depth=1
	v_mov_b32_e32 v15, 0
	v_mov_b32_e32 v16, 0
	s_cmp_eq_u32 s22, 0
	s_cbranch_scc1 .LBB5_543
; %bb.541:                              ;   in Loop: Header=BB5_537 Depth=1
	s_mov_b64 s[18:19], 0
	s_mov_b64 s[20:21], 0
.LBB5_542:                              ;   Parent Loop BB5_537 Depth=1
                                        ; =>  This Inner Loop Header: Depth=2
	s_add_u32 s24, s4, s20
	s_addc_u32 s25, s5, s21
	s_add_u32 s20, s20, 1
	global_load_ubyte v2, v8, s[24:25]
	s_addc_u32 s21, s21, 0
	s_waitcnt vmcnt(0)
	v_and_b32_e32 v7, 0xffff, v2
	v_lshlrev_b64 v[2:3], s18, v[7:8]
	s_add_u32 s18, s18, 8
	s_addc_u32 s19, s19, 0
	s_cmp_lg_u32 s22, s20
	v_or_b32_e32 v15, v2, v15
	v_or_b32_e32 v16, v3, v16
	s_cbranch_scc1 .LBB5_542
.LBB5_543:                              ;   in Loop: Header=BB5_537 Depth=1
	s_mov_b32 s23, 0
	s_cbranch_execz .LBB5_550
	s_branch .LBB5_551
.LBB5_544:                              ;   in Loop: Header=BB5_537 Depth=1
	s_waitcnt vmcnt(0)
	v_mov_b32_e32 v13, 0
	v_mov_b32_e32 v14, 0
	s_cmp_eq_u64 s[10:11], 0
	s_mov_b64 s[4:5], 0
	s_cbranch_scc1 .LBB5_547
; %bb.545:                              ;   in Loop: Header=BB5_537 Depth=1
	v_mov_b32_e32 v13, 0
	v_mov_b32_e32 v14, 0
	s_lshl_b64 s[18:19], s[16:17], 3
	s_mov_b64 s[20:21], s[6:7]
.LBB5_546:                              ;   Parent Loop BB5_537 Depth=1
                                        ; =>  This Inner Loop Header: Depth=2
	global_load_ubyte v2, v8, s[20:21]
	s_waitcnt vmcnt(0)
	v_and_b32_e32 v7, 0xffff, v2
	v_lshlrev_b64 v[2:3], s4, v[7:8]
	s_add_u32 s4, s4, 8
	s_addc_u32 s5, s5, 0
	s_add_u32 s20, s20, 1
	s_addc_u32 s21, s21, 0
	s_cmp_lg_u32 s18, s4
	v_or_b32_e32 v13, v2, v13
	v_or_b32_e32 v14, v3, v14
	s_cbranch_scc1 .LBB5_546
.LBB5_547:                              ;   in Loop: Header=BB5_537 Depth=1
	s_mov_b32 s22, 0
	s_mov_b64 s[4:5], s[6:7]
	s_cbranch_execnz .LBB5_539
.LBB5_548:                              ;   in Loop: Header=BB5_537 Depth=1
	global_load_dwordx2 v[13:14], v8, s[6:7]
	s_add_i32 s22, s16, -8
	s_add_u32 s4, s6, 8
	s_addc_u32 s5, s7, 0
	s_cmp_gt_u32 s22, 7
	s_cbranch_scc0 .LBB5_540
.LBB5_549:                              ;   in Loop: Header=BB5_537 Depth=1
                                        ; implicit-def: $vgpr15_vgpr16
                                        ; implicit-def: $sgpr23
.LBB5_550:                              ;   in Loop: Header=BB5_537 Depth=1
	global_load_dwordx2 v[15:16], v8, s[4:5]
	s_add_i32 s23, s22, -8
	s_add_u32 s4, s4, 8
	s_addc_u32 s5, s5, 0
.LBB5_551:                              ;   in Loop: Header=BB5_537 Depth=1
	s_cmp_gt_u32 s23, 7
	s_cbranch_scc1 .LBB5_556
; %bb.552:                              ;   in Loop: Header=BB5_537 Depth=1
	v_mov_b32_e32 v17, 0
	v_mov_b32_e32 v18, 0
	s_cmp_eq_u32 s23, 0
	s_cbranch_scc1 .LBB5_555
; %bb.553:                              ;   in Loop: Header=BB5_537 Depth=1
	s_mov_b64 s[18:19], 0
	s_mov_b64 s[20:21], 0
.LBB5_554:                              ;   Parent Loop BB5_537 Depth=1
                                        ; =>  This Inner Loop Header: Depth=2
	s_add_u32 s24, s4, s20
	s_addc_u32 s25, s5, s21
	s_add_u32 s20, s20, 1
	global_load_ubyte v2, v8, s[24:25]
	s_addc_u32 s21, s21, 0
	s_waitcnt vmcnt(0)
	v_and_b32_e32 v7, 0xffff, v2
	v_lshlrev_b64 v[2:3], s18, v[7:8]
	s_add_u32 s18, s18, 8
	s_addc_u32 s19, s19, 0
	s_cmp_lg_u32 s23, s20
	v_or_b32_e32 v17, v2, v17
	v_or_b32_e32 v18, v3, v18
	s_cbranch_scc1 .LBB5_554
.LBB5_555:                              ;   in Loop: Header=BB5_537 Depth=1
	s_mov_b32 s22, 0
	s_cbranch_execz .LBB5_557
	s_branch .LBB5_558
.LBB5_556:                              ;   in Loop: Header=BB5_537 Depth=1
                                        ; implicit-def: $sgpr22
.LBB5_557:                              ;   in Loop: Header=BB5_537 Depth=1
	global_load_dwordx2 v[17:18], v8, s[4:5]
	s_add_i32 s22, s23, -8
	s_add_u32 s4, s4, 8
	s_addc_u32 s5, s5, 0
.LBB5_558:                              ;   in Loop: Header=BB5_537 Depth=1
	s_cmp_gt_u32 s22, 7
	s_cbranch_scc1 .LBB5_563
; %bb.559:                              ;   in Loop: Header=BB5_537 Depth=1
	v_mov_b32_e32 v19, 0
	v_mov_b32_e32 v20, 0
	s_cmp_eq_u32 s22, 0
	s_cbranch_scc1 .LBB5_562
; %bb.560:                              ;   in Loop: Header=BB5_537 Depth=1
	s_mov_b64 s[18:19], 0
	s_mov_b64 s[20:21], 0
.LBB5_561:                              ;   Parent Loop BB5_537 Depth=1
                                        ; =>  This Inner Loop Header: Depth=2
	s_add_u32 s24, s4, s20
	s_addc_u32 s25, s5, s21
	s_add_u32 s20, s20, 1
	global_load_ubyte v2, v8, s[24:25]
	s_addc_u32 s21, s21, 0
	s_waitcnt vmcnt(0)
	v_and_b32_e32 v7, 0xffff, v2
	v_lshlrev_b64 v[2:3], s18, v[7:8]
	s_add_u32 s18, s18, 8
	s_addc_u32 s19, s19, 0
	s_cmp_lg_u32 s22, s20
	v_or_b32_e32 v19, v2, v19
	v_or_b32_e32 v20, v3, v20
	s_cbranch_scc1 .LBB5_561
.LBB5_562:                              ;   in Loop: Header=BB5_537 Depth=1
	s_mov_b32 s23, 0
	s_cbranch_execz .LBB5_564
	s_branch .LBB5_565
.LBB5_563:                              ;   in Loop: Header=BB5_537 Depth=1
                                        ; implicit-def: $vgpr19_vgpr20
                                        ; implicit-def: $sgpr23
.LBB5_564:                              ;   in Loop: Header=BB5_537 Depth=1
	global_load_dwordx2 v[19:20], v8, s[4:5]
	s_add_i32 s23, s22, -8
	s_add_u32 s4, s4, 8
	s_addc_u32 s5, s5, 0
.LBB5_565:                              ;   in Loop: Header=BB5_537 Depth=1
	s_cmp_gt_u32 s23, 7
	s_cbranch_scc1 .LBB5_570
; %bb.566:                              ;   in Loop: Header=BB5_537 Depth=1
	v_mov_b32_e32 v21, 0
	v_mov_b32_e32 v22, 0
	s_cmp_eq_u32 s23, 0
	s_cbranch_scc1 .LBB5_569
; %bb.567:                              ;   in Loop: Header=BB5_537 Depth=1
	s_mov_b64 s[18:19], 0
	s_mov_b64 s[20:21], 0
.LBB5_568:                              ;   Parent Loop BB5_537 Depth=1
                                        ; =>  This Inner Loop Header: Depth=2
	s_add_u32 s24, s4, s20
	s_addc_u32 s25, s5, s21
	s_add_u32 s20, s20, 1
	global_load_ubyte v2, v8, s[24:25]
	s_addc_u32 s21, s21, 0
	s_waitcnt vmcnt(0)
	v_and_b32_e32 v7, 0xffff, v2
	v_lshlrev_b64 v[2:3], s18, v[7:8]
	s_add_u32 s18, s18, 8
	s_addc_u32 s19, s19, 0
	s_cmp_lg_u32 s23, s20
	v_or_b32_e32 v21, v2, v21
	v_or_b32_e32 v22, v3, v22
	s_cbranch_scc1 .LBB5_568
.LBB5_569:                              ;   in Loop: Header=BB5_537 Depth=1
	s_mov_b32 s22, 0
	s_cbranch_execz .LBB5_571
	s_branch .LBB5_572
.LBB5_570:                              ;   in Loop: Header=BB5_537 Depth=1
                                        ; implicit-def: $sgpr22
.LBB5_571:                              ;   in Loop: Header=BB5_537 Depth=1
	global_load_dwordx2 v[21:22], v8, s[4:5]
	s_add_i32 s22, s23, -8
	s_add_u32 s4, s4, 8
	s_addc_u32 s5, s5, 0
.LBB5_572:                              ;   in Loop: Header=BB5_537 Depth=1
	s_cmp_gt_u32 s22, 7
	s_cbranch_scc1 .LBB5_577
; %bb.573:                              ;   in Loop: Header=BB5_537 Depth=1
	v_mov_b32_e32 v23, 0
	v_mov_b32_e32 v24, 0
	s_cmp_eq_u32 s22, 0
	s_cbranch_scc1 .LBB5_576
; %bb.574:                              ;   in Loop: Header=BB5_537 Depth=1
	s_mov_b64 s[18:19], 0
	s_mov_b64 s[20:21], 0
.LBB5_575:                              ;   Parent Loop BB5_537 Depth=1
                                        ; =>  This Inner Loop Header: Depth=2
	s_add_u32 s24, s4, s20
	s_addc_u32 s25, s5, s21
	s_add_u32 s20, s20, 1
	global_load_ubyte v2, v8, s[24:25]
	s_addc_u32 s21, s21, 0
	s_waitcnt vmcnt(0)
	v_and_b32_e32 v7, 0xffff, v2
	v_lshlrev_b64 v[2:3], s18, v[7:8]
	s_add_u32 s18, s18, 8
	s_addc_u32 s19, s19, 0
	s_cmp_lg_u32 s22, s20
	v_or_b32_e32 v23, v2, v23
	v_or_b32_e32 v24, v3, v24
	s_cbranch_scc1 .LBB5_575
.LBB5_576:                              ;   in Loop: Header=BB5_537 Depth=1
	s_mov_b32 s23, 0
	s_cbranch_execz .LBB5_578
	s_branch .LBB5_579
.LBB5_577:                              ;   in Loop: Header=BB5_537 Depth=1
                                        ; implicit-def: $vgpr23_vgpr24
                                        ; implicit-def: $sgpr23
.LBB5_578:                              ;   in Loop: Header=BB5_537 Depth=1
	global_load_dwordx2 v[23:24], v8, s[4:5]
	s_add_i32 s23, s22, -8
	s_add_u32 s4, s4, 8
	s_addc_u32 s5, s5, 0
.LBB5_579:                              ;   in Loop: Header=BB5_537 Depth=1
	s_cmp_gt_u32 s23, 7
	s_cbranch_scc1 .LBB5_584
; %bb.580:                              ;   in Loop: Header=BB5_537 Depth=1
	v_mov_b32_e32 v25, 0
	v_mov_b32_e32 v26, 0
	s_cmp_eq_u32 s23, 0
	s_cbranch_scc1 .LBB5_583
; %bb.581:                              ;   in Loop: Header=BB5_537 Depth=1
	s_mov_b64 s[18:19], 0
	s_mov_b64 s[20:21], s[4:5]
.LBB5_582:                              ;   Parent Loop BB5_537 Depth=1
                                        ; =>  This Inner Loop Header: Depth=2
	global_load_ubyte v2, v8, s[20:21]
	s_add_i32 s23, s23, -1
	s_waitcnt vmcnt(0)
	v_and_b32_e32 v7, 0xffff, v2
	v_lshlrev_b64 v[2:3], s18, v[7:8]
	s_add_u32 s18, s18, 8
	s_addc_u32 s19, s19, 0
	s_add_u32 s20, s20, 1
	s_addc_u32 s21, s21, 0
	s_cmp_lg_u32 s23, 0
	v_or_b32_e32 v25, v2, v25
	v_or_b32_e32 v26, v3, v26
	s_cbranch_scc1 .LBB5_582
.LBB5_583:                              ;   in Loop: Header=BB5_537 Depth=1
	s_cbranch_execz .LBB5_585
	s_branch .LBB5_586
.LBB5_584:                              ;   in Loop: Header=BB5_537 Depth=1
.LBB5_585:                              ;   in Loop: Header=BB5_537 Depth=1
	global_load_dwordx2 v[25:26], v8, s[4:5]
.LBB5_586:                              ;   in Loop: Header=BB5_537 Depth=1
	v_readfirstlane_b32 s4, v49
	v_mov_b32_e32 v2, 0
	v_mov_b32_e32 v3, 0
	v_cmp_eq_u32_e64 s4, s4, v49
	s_and_saveexec_b32 s5, s4
	s_cbranch_execz .LBB5_592
; %bb.587:                              ;   in Loop: Header=BB5_537 Depth=1
	global_load_dwordx2 v[29:30], v8, s[26:27] offset:24 glc dlc
	s_waitcnt vmcnt(0)
	buffer_gl1_inv
	buffer_gl0_inv
	s_clause 0x1
	global_load_dwordx2 v[2:3], v8, s[26:27] offset:40
	global_load_dwordx2 v[27:28], v8, s[26:27]
	s_mov_b32 s18, exec_lo
	s_waitcnt vmcnt(1)
	v_and_b32_e32 v3, v3, v30
	v_and_b32_e32 v2, v2, v29
	v_mul_lo_u32 v3, v3, 24
	v_mul_hi_u32 v7, v2, 24
	v_mul_lo_u32 v2, v2, 24
	v_add_nc_u32_e32 v3, v7, v3
	s_waitcnt vmcnt(0)
	v_add_co_u32 v2, vcc_lo, v27, v2
	v_add_co_ci_u32_e32 v3, vcc_lo, v28, v3, vcc_lo
	global_load_dwordx2 v[27:28], v[2:3], off glc dlc
	s_waitcnt vmcnt(0)
	global_atomic_cmpswap_x2 v[2:3], v8, v[27:30], s[26:27] offset:24 glc
	s_waitcnt vmcnt(0)
	buffer_gl1_inv
	buffer_gl0_inv
	v_cmpx_ne_u64_e64 v[2:3], v[29:30]
	s_cbranch_execz .LBB5_591
; %bb.588:                              ;   in Loop: Header=BB5_537 Depth=1
	s_mov_b32 s19, 0
	.p2align	6
.LBB5_589:                              ;   Parent Loop BB5_537 Depth=1
                                        ; =>  This Inner Loop Header: Depth=2
	s_sleep 1
	s_clause 0x1
	global_load_dwordx2 v[27:28], v8, s[26:27] offset:40
	global_load_dwordx2 v[31:32], v8, s[26:27]
	v_mov_b32_e32 v30, v3
	v_mov_b32_e32 v29, v2
	s_waitcnt vmcnt(1)
	v_and_b32_e32 v2, v27, v29
	v_and_b32_e32 v7, v28, v30
	s_waitcnt vmcnt(0)
	v_mad_u64_u32 v[2:3], null, v2, 24, v[31:32]
	v_mad_u64_u32 v[27:28], null, v7, 24, v[3:4]
	v_mov_b32_e32 v3, v27
	global_load_dwordx2 v[27:28], v[2:3], off glc dlc
	s_waitcnt vmcnt(0)
	global_atomic_cmpswap_x2 v[2:3], v8, v[27:30], s[26:27] offset:24 glc
	s_waitcnt vmcnt(0)
	buffer_gl1_inv
	buffer_gl0_inv
	v_cmp_eq_u64_e32 vcc_lo, v[2:3], v[29:30]
	s_or_b32 s19, vcc_lo, s19
	s_andn2_b32 exec_lo, exec_lo, s19
	s_cbranch_execnz .LBB5_589
; %bb.590:                              ;   in Loop: Header=BB5_537 Depth=1
	s_or_b32 exec_lo, exec_lo, s19
.LBB5_591:                              ;   in Loop: Header=BB5_537 Depth=1
	s_or_b32 exec_lo, exec_lo, s18
.LBB5_592:                              ;   in Loop: Header=BB5_537 Depth=1
	s_or_b32 exec_lo, exec_lo, s5
	s_clause 0x1
	global_load_dwordx2 v[31:32], v8, s[26:27] offset:40
	global_load_dwordx4 v[27:30], v8, s[26:27]
	v_readfirstlane_b32 s18, v2
	v_readfirstlane_b32 s19, v3
	s_mov_b32 s5, exec_lo
	s_waitcnt vmcnt(1)
	v_readfirstlane_b32 s20, v31
	v_readfirstlane_b32 s21, v32
	s_and_b64 s[20:21], s[18:19], s[20:21]
	s_mul_i32 s22, s21, 24
	s_mul_hi_u32 s23, s20, 24
	s_mul_i32 s24, s20, 24
	s_add_i32 s23, s23, s22
	s_waitcnt vmcnt(0)
	v_add_co_u32 v2, vcc_lo, v27, s24
	v_add_co_ci_u32_e32 v3, vcc_lo, s23, v28, vcc_lo
	s_and_saveexec_b32 s22, s4
	s_cbranch_execz .LBB5_594
; %bb.593:                              ;   in Loop: Header=BB5_537 Depth=1
	v_mov_b32_e32 v7, s5
	global_store_dwordx4 v[2:3], v[7:10], off offset:8
.LBB5_594:                              ;   in Loop: Header=BB5_537 Depth=1
	s_or_b32 exec_lo, exec_lo, s22
	s_lshl_b64 s[20:21], s[20:21], 12
	v_or_b32_e32 v7, 2, v11
	v_add_co_u32 v29, vcc_lo, v29, s20
	v_add_co_ci_u32_e32 v30, vcc_lo, s21, v30, vcc_lo
	v_cmp_gt_u64_e64 vcc_lo, s[10:11], 56
	s_lshl_b32 s5, s16, 2
	v_readfirstlane_b32 s20, v29
	s_add_i32 s5, s5, 28
	v_readfirstlane_b32 s21, v30
	s_and_b32 s5, s5, 0x1e0
	v_cndmask_b32_e32 v7, v7, v11, vcc_lo
	v_and_or_b32 v11, 0xffffff1f, v7, s5
	global_store_dwordx4 v48, v[15:18], s[20:21] offset:16
	global_store_dwordx4 v48, v[11:14], s[20:21]
	global_store_dwordx4 v48, v[19:22], s[20:21] offset:32
	global_store_dwordx4 v48, v[23:26], s[20:21] offset:48
	s_and_saveexec_b32 s5, s4
	s_cbranch_execz .LBB5_602
; %bb.595:                              ;   in Loop: Header=BB5_537 Depth=1
	s_clause 0x1
	global_load_dwordx2 v[19:20], v8, s[26:27] offset:32 glc dlc
	global_load_dwordx2 v[11:12], v8, s[26:27] offset:40
	v_mov_b32_e32 v17, s18
	v_mov_b32_e32 v18, s19
	s_waitcnt vmcnt(0)
	v_readfirstlane_b32 s20, v11
	v_readfirstlane_b32 s21, v12
	s_and_b64 s[20:21], s[20:21], s[18:19]
	s_mul_i32 s21, s21, 24
	s_mul_hi_u32 s22, s20, 24
	s_mul_i32 s20, s20, 24
	s_add_i32 s22, s22, s21
	v_add_co_u32 v15, vcc_lo, v27, s20
	v_add_co_ci_u32_e32 v16, vcc_lo, s22, v28, vcc_lo
	s_mov_b32 s20, exec_lo
	global_store_dwordx2 v[15:16], v[19:20], off
	s_waitcnt_vscnt null, 0x0
	global_atomic_cmpswap_x2 v[13:14], v8, v[17:20], s[26:27] offset:32 glc
	s_waitcnt vmcnt(0)
	v_cmpx_ne_u64_e64 v[13:14], v[19:20]
	s_cbranch_execz .LBB5_598
; %bb.596:                              ;   in Loop: Header=BB5_537 Depth=1
	s_mov_b32 s21, 0
.LBB5_597:                              ;   Parent Loop BB5_537 Depth=1
                                        ; =>  This Inner Loop Header: Depth=2
	v_mov_b32_e32 v11, s18
	v_mov_b32_e32 v12, s19
	s_sleep 1
	global_store_dwordx2 v[15:16], v[13:14], off
	s_waitcnt_vscnt null, 0x0
	global_atomic_cmpswap_x2 v[11:12], v8, v[11:14], s[26:27] offset:32 glc
	s_waitcnt vmcnt(0)
	v_cmp_eq_u64_e32 vcc_lo, v[11:12], v[13:14]
	v_mov_b32_e32 v14, v12
	v_mov_b32_e32 v13, v11
	s_or_b32 s21, vcc_lo, s21
	s_andn2_b32 exec_lo, exec_lo, s21
	s_cbranch_execnz .LBB5_597
.LBB5_598:                              ;   in Loop: Header=BB5_537 Depth=1
	s_or_b32 exec_lo, exec_lo, s20
	global_load_dwordx2 v[11:12], v8, s[26:27] offset:16
	s_mov_b32 s21, exec_lo
	s_mov_b32 s20, exec_lo
	v_mbcnt_lo_u32_b32 v7, s21, 0
	v_cmpx_eq_u32_e32 0, v7
	s_cbranch_execz .LBB5_600
; %bb.599:                              ;   in Loop: Header=BB5_537 Depth=1
	s_bcnt1_i32_b32 s21, s21
	v_mov_b32_e32 v7, s21
	s_waitcnt vmcnt(0)
	global_atomic_add_x2 v[11:12], v[7:8], off offset:8
.LBB5_600:                              ;   in Loop: Header=BB5_537 Depth=1
	s_or_b32 exec_lo, exec_lo, s20
	s_waitcnt vmcnt(0)
	global_load_dwordx2 v[13:14], v[11:12], off offset:16
	s_waitcnt vmcnt(0)
	v_cmp_eq_u64_e32 vcc_lo, 0, v[13:14]
	s_cbranch_vccnz .LBB5_602
; %bb.601:                              ;   in Loop: Header=BB5_537 Depth=1
	global_load_dword v7, v[11:12], off offset:24
	s_waitcnt vmcnt(0)
	v_and_b32_e32 v11, 0x7fffff, v7
	s_waitcnt_vscnt null, 0x0
	global_store_dwordx2 v[13:14], v[7:8], off
	v_readfirstlane_b32 m0, v11
	s_sendmsg sendmsg(MSG_INTERRUPT)
.LBB5_602:                              ;   in Loop: Header=BB5_537 Depth=1
	s_or_b32 exec_lo, exec_lo, s5
	v_add_co_u32 v11, vcc_lo, v29, v48
	v_add_co_ci_u32_e32 v12, vcc_lo, 0, v30, vcc_lo
	s_branch .LBB5_606
	.p2align	6
.LBB5_603:                              ;   in Loop: Header=BB5_606 Depth=2
	s_or_b32 exec_lo, exec_lo, s5
	v_readfirstlane_b32 s5, v7
	s_cmp_eq_u32 s5, 0
	s_cbranch_scc1 .LBB5_605
; %bb.604:                              ;   in Loop: Header=BB5_606 Depth=2
	s_sleep 1
	s_cbranch_execnz .LBB5_606
	s_branch .LBB5_608
	.p2align	6
.LBB5_605:                              ;   in Loop: Header=BB5_537 Depth=1
	s_branch .LBB5_608
.LBB5_606:                              ;   Parent Loop BB5_537 Depth=1
                                        ; =>  This Inner Loop Header: Depth=2
	v_mov_b32_e32 v7, 1
	s_and_saveexec_b32 s5, s4
	s_cbranch_execz .LBB5_603
; %bb.607:                              ;   in Loop: Header=BB5_606 Depth=2
	global_load_dword v7, v[2:3], off offset:20 glc dlc
	s_waitcnt vmcnt(0)
	buffer_gl1_inv
	buffer_gl0_inv
	v_and_b32_e32 v7, 1, v7
	s_branch .LBB5_603
.LBB5_608:                              ;   in Loop: Header=BB5_537 Depth=1
	global_load_dwordx4 v[11:14], v[11:12], off
	s_and_saveexec_b32 s5, s4
	s_cbranch_execz .LBB5_536
; %bb.609:                              ;   in Loop: Header=BB5_537 Depth=1
	s_clause 0x2
	global_load_dwordx2 v[2:3], v8, s[26:27] offset:40
	global_load_dwordx2 v[17:18], v8, s[26:27] offset:24 glc dlc
	global_load_dwordx2 v[15:16], v8, s[26:27]
	s_waitcnt vmcnt(2)
	v_add_co_u32 v7, vcc_lo, v2, 1
	v_add_co_ci_u32_e32 v19, vcc_lo, 0, v3, vcc_lo
	v_add_co_u32 v13, vcc_lo, v7, s18
	v_add_co_ci_u32_e32 v14, vcc_lo, s19, v19, vcc_lo
	v_cmp_eq_u64_e32 vcc_lo, 0, v[13:14]
	v_cndmask_b32_e32 v14, v14, v19, vcc_lo
	v_cndmask_b32_e32 v13, v13, v7, vcc_lo
	v_and_b32_e32 v3, v14, v3
	v_and_b32_e32 v2, v13, v2
	v_mul_lo_u32 v3, v3, 24
	v_mul_hi_u32 v7, v2, 24
	v_mul_lo_u32 v2, v2, 24
	v_add_nc_u32_e32 v3, v7, v3
	s_waitcnt vmcnt(0)
	v_add_co_u32 v2, vcc_lo, v15, v2
	v_mov_b32_e32 v15, v17
	v_add_co_ci_u32_e32 v3, vcc_lo, v16, v3, vcc_lo
	v_mov_b32_e32 v16, v18
	global_store_dwordx2 v[2:3], v[17:18], off
	s_waitcnt_vscnt null, 0x0
	global_atomic_cmpswap_x2 v[15:16], v8, v[13:16], s[26:27] offset:24 glc
	s_waitcnt vmcnt(0)
	v_cmp_ne_u64_e32 vcc_lo, v[15:16], v[17:18]
	s_and_b32 exec_lo, exec_lo, vcc_lo
	s_cbranch_execz .LBB5_536
; %bb.610:                              ;   in Loop: Header=BB5_537 Depth=1
	s_mov_b32 s4, 0
.LBB5_611:                              ;   Parent Loop BB5_537 Depth=1
                                        ; =>  This Inner Loop Header: Depth=2
	s_sleep 1
	global_store_dwordx2 v[2:3], v[15:16], off
	s_waitcnt_vscnt null, 0x0
	global_atomic_cmpswap_x2 v[17:18], v8, v[13:16], s[26:27] offset:24 glc
	s_waitcnt vmcnt(0)
	v_cmp_eq_u64_e32 vcc_lo, v[17:18], v[15:16]
	v_mov_b32_e32 v15, v17
	v_mov_b32_e32 v16, v18
	s_or_b32 s4, vcc_lo, s4
	s_andn2_b32 exec_lo, exec_lo, s4
	s_cbranch_execnz .LBB5_611
	s_branch .LBB5_536
.LBB5_612:
	s_branch .LBB5_641
.LBB5_613:
	s_cbranch_execz .LBB5_641
; %bb.614:
	v_readfirstlane_b32 s4, v49
	s_waitcnt vmcnt(0)
	v_mov_b32_e32 v11, 0
	v_mov_b32_e32 v12, 0
	v_cmp_eq_u32_e64 s4, s4, v49
	s_and_saveexec_b32 s5, s4
	s_cbranch_execz .LBB5_620
; %bb.615:
	v_mov_b32_e32 v2, 0
	s_mov_b32 s6, exec_lo
	global_load_dwordx2 v[9:10], v2, s[26:27] offset:24 glc dlc
	s_waitcnt vmcnt(0)
	buffer_gl1_inv
	buffer_gl0_inv
	s_clause 0x1
	global_load_dwordx2 v[7:8], v2, s[26:27] offset:40
	global_load_dwordx2 v[11:12], v2, s[26:27]
	s_waitcnt vmcnt(1)
	v_and_b32_e32 v3, v8, v10
	v_and_b32_e32 v7, v7, v9
	v_mul_lo_u32 v3, v3, 24
	v_mul_hi_u32 v8, v7, 24
	v_mul_lo_u32 v7, v7, 24
	v_add_nc_u32_e32 v3, v8, v3
	s_waitcnt vmcnt(0)
	v_add_co_u32 v7, vcc_lo, v11, v7
	v_add_co_ci_u32_e32 v8, vcc_lo, v12, v3, vcc_lo
	global_load_dwordx2 v[7:8], v[7:8], off glc dlc
	s_waitcnt vmcnt(0)
	global_atomic_cmpswap_x2 v[11:12], v2, v[7:10], s[26:27] offset:24 glc
	s_waitcnt vmcnt(0)
	buffer_gl1_inv
	buffer_gl0_inv
	v_cmpx_ne_u64_e64 v[11:12], v[9:10]
	s_cbranch_execz .LBB5_619
; %bb.616:
	s_mov_b32 s7, 0
	.p2align	6
.LBB5_617:                              ; =>This Inner Loop Header: Depth=1
	s_sleep 1
	s_clause 0x1
	global_load_dwordx2 v[7:8], v2, s[26:27] offset:40
	global_load_dwordx2 v[13:14], v2, s[26:27]
	v_mov_b32_e32 v9, v11
	v_mov_b32_e32 v10, v12
	s_waitcnt vmcnt(1)
	v_and_b32_e32 v3, v7, v9
	v_and_b32_e32 v7, v8, v10
	s_waitcnt vmcnt(0)
	v_mad_u64_u32 v[11:12], null, v3, 24, v[13:14]
	v_mov_b32_e32 v3, v12
	v_mad_u64_u32 v[7:8], null, v7, 24, v[3:4]
	v_mov_b32_e32 v12, v7
	global_load_dwordx2 v[7:8], v[11:12], off glc dlc
	s_waitcnt vmcnt(0)
	global_atomic_cmpswap_x2 v[11:12], v2, v[7:10], s[26:27] offset:24 glc
	s_waitcnt vmcnt(0)
	buffer_gl1_inv
	buffer_gl0_inv
	v_cmp_eq_u64_e32 vcc_lo, v[11:12], v[9:10]
	s_or_b32 s7, vcc_lo, s7
	s_andn2_b32 exec_lo, exec_lo, s7
	s_cbranch_execnz .LBB5_617
; %bb.618:
	s_or_b32 exec_lo, exec_lo, s7
.LBB5_619:
	s_or_b32 exec_lo, exec_lo, s6
.LBB5_620:
	s_or_b32 exec_lo, exec_lo, s5
	v_mov_b32_e32 v2, 0
	v_readfirstlane_b32 s6, v11
	v_readfirstlane_b32 s7, v12
	s_mov_b32 s5, exec_lo
	s_clause 0x1
	global_load_dwordx2 v[13:14], v2, s[26:27] offset:40
	global_load_dwordx4 v[7:10], v2, s[26:27]
	s_waitcnt vmcnt(1)
	v_readfirstlane_b32 s10, v13
	v_readfirstlane_b32 s11, v14
	s_and_b64 s[10:11], s[6:7], s[10:11]
	s_mul_i32 s16, s11, 24
	s_mul_hi_u32 s17, s10, 24
	s_mul_i32 s18, s10, 24
	s_add_i32 s17, s17, s16
	s_waitcnt vmcnt(0)
	v_add_co_u32 v11, vcc_lo, v7, s18
	v_add_co_ci_u32_e32 v12, vcc_lo, s17, v8, vcc_lo
	s_and_saveexec_b32 s16, s4
	s_cbranch_execz .LBB5_622
; %bb.621:
	v_mov_b32_e32 v13, s5
	v_mov_b32_e32 v14, v2
	v_mov_b32_e32 v15, 2
	v_mov_b32_e32 v16, 1
	global_store_dwordx4 v[11:12], v[13:16], off offset:8
.LBB5_622:
	s_or_b32 exec_lo, exec_lo, s16
	s_lshl_b64 s[10:11], s[10:11], 12
	s_mov_b32 s16, 0
	v_add_co_u32 v9, vcc_lo, v9, s10
	v_add_co_ci_u32_e32 v10, vcc_lo, s11, v10, vcc_lo
	s_mov_b32 s17, s16
	s_mov_b32 s18, s16
	s_mov_b32 s19, s16
	v_and_or_b32 v0, 0xffffff1d, v0, 34
	v_mov_b32_e32 v3, v2
	v_readfirstlane_b32 s10, v9
	v_readfirstlane_b32 s11, v10
	v_mov_b32_e32 v13, s16
	v_mov_b32_e32 v14, s17
	v_mov_b32_e32 v15, s18
	v_mov_b32_e32 v16, s19
	global_store_dwordx4 v48, v[0:3], s[10:11]
	global_store_dwordx4 v48, v[13:16], s[10:11] offset:16
	global_store_dwordx4 v48, v[13:16], s[10:11] offset:32
	;; [unrolled: 1-line block ×3, first 2 shown]
	s_and_saveexec_b32 s5, s4
	s_cbranch_execz .LBB5_630
; %bb.623:
	v_mov_b32_e32 v9, 0
	v_mov_b32_e32 v13, s6
	;; [unrolled: 1-line block ×3, first 2 shown]
	s_clause 0x1
	global_load_dwordx2 v[15:16], v9, s[26:27] offset:32 glc dlc
	global_load_dwordx2 v[0:1], v9, s[26:27] offset:40
	s_waitcnt vmcnt(0)
	v_readfirstlane_b32 s10, v0
	v_readfirstlane_b32 s11, v1
	s_and_b64 s[10:11], s[10:11], s[6:7]
	s_mul_i32 s11, s11, 24
	s_mul_hi_u32 s16, s10, 24
	s_mul_i32 s10, s10, 24
	s_add_i32 s16, s16, s11
	v_add_co_u32 v7, vcc_lo, v7, s10
	v_add_co_ci_u32_e32 v8, vcc_lo, s16, v8, vcc_lo
	s_mov_b32 s10, exec_lo
	global_store_dwordx2 v[7:8], v[15:16], off
	s_waitcnt_vscnt null, 0x0
	global_atomic_cmpswap_x2 v[2:3], v9, v[13:16], s[26:27] offset:32 glc
	s_waitcnt vmcnt(0)
	v_cmpx_ne_u64_e64 v[2:3], v[15:16]
	s_cbranch_execz .LBB5_626
; %bb.624:
	s_mov_b32 s11, 0
.LBB5_625:                              ; =>This Inner Loop Header: Depth=1
	v_mov_b32_e32 v0, s6
	v_mov_b32_e32 v1, s7
	s_sleep 1
	global_store_dwordx2 v[7:8], v[2:3], off
	s_waitcnt_vscnt null, 0x0
	global_atomic_cmpswap_x2 v[0:1], v9, v[0:3], s[26:27] offset:32 glc
	s_waitcnt vmcnt(0)
	v_cmp_eq_u64_e32 vcc_lo, v[0:1], v[2:3]
	v_mov_b32_e32 v3, v1
	v_mov_b32_e32 v2, v0
	s_or_b32 s11, vcc_lo, s11
	s_andn2_b32 exec_lo, exec_lo, s11
	s_cbranch_execnz .LBB5_625
.LBB5_626:
	s_or_b32 exec_lo, exec_lo, s10
	v_mov_b32_e32 v3, 0
	s_mov_b32 s11, exec_lo
	s_mov_b32 s10, exec_lo
	v_mbcnt_lo_u32_b32 v2, s11, 0
	global_load_dwordx2 v[0:1], v3, s[26:27] offset:16
	v_cmpx_eq_u32_e32 0, v2
	s_cbranch_execz .LBB5_628
; %bb.627:
	s_bcnt1_i32_b32 s11, s11
	v_mov_b32_e32 v2, s11
	s_waitcnt vmcnt(0)
	global_atomic_add_x2 v[0:1], v[2:3], off offset:8
.LBB5_628:
	s_or_b32 exec_lo, exec_lo, s10
	s_waitcnt vmcnt(0)
	global_load_dwordx2 v[2:3], v[0:1], off offset:16
	s_waitcnt vmcnt(0)
	v_cmp_eq_u64_e32 vcc_lo, 0, v[2:3]
	s_cbranch_vccnz .LBB5_630
; %bb.629:
	global_load_dword v0, v[0:1], off offset:24
	v_mov_b32_e32 v1, 0
	s_waitcnt vmcnt(0)
	v_and_b32_e32 v7, 0x7fffff, v0
	s_waitcnt_vscnt null, 0x0
	global_store_dwordx2 v[2:3], v[0:1], off
	v_readfirstlane_b32 m0, v7
	s_sendmsg sendmsg(MSG_INTERRUPT)
.LBB5_630:
	s_or_b32 exec_lo, exec_lo, s5
	s_branch .LBB5_634
	.p2align	6
.LBB5_631:                              ;   in Loop: Header=BB5_634 Depth=1
	s_or_b32 exec_lo, exec_lo, s5
	v_readfirstlane_b32 s5, v0
	s_cmp_eq_u32 s5, 0
	s_cbranch_scc1 .LBB5_633
; %bb.632:                              ;   in Loop: Header=BB5_634 Depth=1
	s_sleep 1
	s_cbranch_execnz .LBB5_634
	s_branch .LBB5_636
	.p2align	6
.LBB5_633:
	s_branch .LBB5_636
.LBB5_634:                              ; =>This Inner Loop Header: Depth=1
	v_mov_b32_e32 v0, 1
	s_and_saveexec_b32 s5, s4
	s_cbranch_execz .LBB5_631
; %bb.635:                              ;   in Loop: Header=BB5_634 Depth=1
	global_load_dword v0, v[11:12], off offset:20 glc dlc
	s_waitcnt vmcnt(0)
	buffer_gl1_inv
	buffer_gl0_inv
	v_and_b32_e32 v0, 1, v0
	s_branch .LBB5_631
.LBB5_636:
	s_and_saveexec_b32 s5, s4
	s_cbranch_execz .LBB5_640
; %bb.637:
	v_mov_b32_e32 v9, 0
	s_clause 0x2
	global_load_dwordx2 v[2:3], v9, s[26:27] offset:40
	global_load_dwordx2 v[10:11], v9, s[26:27] offset:24 glc dlc
	global_load_dwordx2 v[7:8], v9, s[26:27]
	s_waitcnt vmcnt(2)
	v_add_co_u32 v12, vcc_lo, v2, 1
	v_add_co_ci_u32_e32 v13, vcc_lo, 0, v3, vcc_lo
	v_add_co_u32 v0, vcc_lo, v12, s6
	v_add_co_ci_u32_e32 v1, vcc_lo, s7, v13, vcc_lo
	v_cmp_eq_u64_e32 vcc_lo, 0, v[0:1]
	v_cndmask_b32_e32 v1, v1, v13, vcc_lo
	v_cndmask_b32_e32 v0, v0, v12, vcc_lo
	v_and_b32_e32 v3, v1, v3
	v_and_b32_e32 v2, v0, v2
	v_mul_lo_u32 v3, v3, 24
	v_mul_hi_u32 v12, v2, 24
	v_mul_lo_u32 v2, v2, 24
	v_add_nc_u32_e32 v3, v12, v3
	s_waitcnt vmcnt(0)
	v_add_co_u32 v7, vcc_lo, v7, v2
	v_mov_b32_e32 v2, v10
	v_add_co_ci_u32_e32 v8, vcc_lo, v8, v3, vcc_lo
	v_mov_b32_e32 v3, v11
	global_store_dwordx2 v[7:8], v[10:11], off
	s_waitcnt_vscnt null, 0x0
	global_atomic_cmpswap_x2 v[2:3], v9, v[0:3], s[26:27] offset:24 glc
	s_waitcnt vmcnt(0)
	v_cmp_ne_u64_e32 vcc_lo, v[2:3], v[10:11]
	s_and_b32 exec_lo, exec_lo, vcc_lo
	s_cbranch_execz .LBB5_640
; %bb.638:
	s_mov_b32 s4, 0
.LBB5_639:                              ; =>This Inner Loop Header: Depth=1
	s_sleep 1
	global_store_dwordx2 v[7:8], v[2:3], off
	s_waitcnt_vscnt null, 0x0
	global_atomic_cmpswap_x2 v[10:11], v9, v[0:3], s[26:27] offset:24 glc
	s_waitcnt vmcnt(0)
	v_cmp_eq_u64_e32 vcc_lo, v[10:11], v[2:3]
	v_mov_b32_e32 v2, v10
	v_mov_b32_e32 v3, v11
	s_or_b32 s4, vcc_lo, s4
	s_andn2_b32 exec_lo, exec_lo, s4
	s_cbranch_execnz .LBB5_639
.LBB5_640:
	s_or_b32 exec_lo, exec_lo, s5
.LBB5_641:
	v_readfirstlane_b32 s4, v49
	v_mov_b32_e32 v9, 0
	v_mov_b32_e32 v10, 0
	v_cmp_eq_u32_e64 s4, s4, v49
	s_and_saveexec_b32 s5, s4
	s_cbranch_execz .LBB5_647
; %bb.642:
	s_waitcnt vmcnt(0)
	v_mov_b32_e32 v0, 0
	s_mov_b32 s6, exec_lo
	global_load_dwordx2 v[11:12], v0, s[26:27] offset:24 glc dlc
	s_waitcnt vmcnt(0)
	buffer_gl1_inv
	buffer_gl0_inv
	s_clause 0x1
	global_load_dwordx2 v[1:2], v0, s[26:27] offset:40
	global_load_dwordx2 v[7:8], v0, s[26:27]
	s_waitcnt vmcnt(1)
	v_and_b32_e32 v2, v2, v12
	v_and_b32_e32 v1, v1, v11
	v_mul_lo_u32 v2, v2, 24
	v_mul_hi_u32 v3, v1, 24
	v_mul_lo_u32 v1, v1, 24
	v_add_nc_u32_e32 v2, v3, v2
	s_waitcnt vmcnt(0)
	v_add_co_u32 v1, vcc_lo, v7, v1
	v_add_co_ci_u32_e32 v2, vcc_lo, v8, v2, vcc_lo
	global_load_dwordx2 v[9:10], v[1:2], off glc dlc
	s_waitcnt vmcnt(0)
	global_atomic_cmpswap_x2 v[9:10], v0, v[9:12], s[26:27] offset:24 glc
	s_waitcnt vmcnt(0)
	buffer_gl1_inv
	buffer_gl0_inv
	v_cmpx_ne_u64_e64 v[9:10], v[11:12]
	s_cbranch_execz .LBB5_646
; %bb.643:
	s_mov_b32 s7, 0
	.p2align	6
.LBB5_644:                              ; =>This Inner Loop Header: Depth=1
	s_sleep 1
	s_clause 0x1
	global_load_dwordx2 v[1:2], v0, s[26:27] offset:40
	global_load_dwordx2 v[7:8], v0, s[26:27]
	v_mov_b32_e32 v12, v10
	v_mov_b32_e32 v11, v9
	s_waitcnt vmcnt(1)
	v_and_b32_e32 v1, v1, v11
	v_and_b32_e32 v2, v2, v12
	s_waitcnt vmcnt(0)
	v_mad_u64_u32 v[7:8], null, v1, 24, v[7:8]
	v_mov_b32_e32 v1, v8
	v_mad_u64_u32 v[1:2], null, v2, 24, v[1:2]
	v_mov_b32_e32 v8, v1
	global_load_dwordx2 v[9:10], v[7:8], off glc dlc
	s_waitcnt vmcnt(0)
	global_atomic_cmpswap_x2 v[9:10], v0, v[9:12], s[26:27] offset:24 glc
	s_waitcnt vmcnt(0)
	buffer_gl1_inv
	buffer_gl0_inv
	v_cmp_eq_u64_e32 vcc_lo, v[9:10], v[11:12]
	s_or_b32 s7, vcc_lo, s7
	s_andn2_b32 exec_lo, exec_lo, s7
	s_cbranch_execnz .LBB5_644
; %bb.645:
	s_or_b32 exec_lo, exec_lo, s7
.LBB5_646:
	s_or_b32 exec_lo, exec_lo, s6
.LBB5_647:
	s_or_b32 exec_lo, exec_lo, s5
	s_waitcnt vmcnt(0)
	v_mov_b32_e32 v8, 0
	v_readfirstlane_b32 s6, v9
	v_readfirstlane_b32 s7, v10
	s_mov_b32 s5, exec_lo
	s_clause 0x1
	global_load_dwordx2 v[11:12], v8, s[26:27] offset:40
	global_load_dwordx4 v[0:3], v8, s[26:27]
	s_waitcnt vmcnt(1)
	v_readfirstlane_b32 s10, v11
	v_readfirstlane_b32 s11, v12
	s_and_b64 s[10:11], s[6:7], s[10:11]
	s_mul_i32 s16, s11, 24
	s_mul_hi_u32 s17, s10, 24
	s_mul_i32 s18, s10, 24
	s_add_i32 s17, s17, s16
	s_waitcnt vmcnt(0)
	v_add_co_u32 v11, vcc_lo, v0, s18
	v_add_co_ci_u32_e32 v12, vcc_lo, s17, v1, vcc_lo
	s_and_saveexec_b32 s16, s4
	s_cbranch_execz .LBB5_649
; %bb.648:
	v_mov_b32_e32 v7, s5
	v_mov_b32_e32 v9, 2
	;; [unrolled: 1-line block ×3, first 2 shown]
	global_store_dwordx4 v[11:12], v[7:10], off offset:8
.LBB5_649:
	s_or_b32 exec_lo, exec_lo, s16
	s_lshl_b64 s[10:11], s[10:11], 12
	s_mov_b32 s16, 0
	v_add_co_u32 v2, vcc_lo, v2, s10
	v_add_co_ci_u32_e32 v3, vcc_lo, s11, v3, vcc_lo
	s_mov_b32 s17, s16
	v_add_co_u32 v13, vcc_lo, v2, v48
	s_mov_b32 s18, s16
	s_mov_b32 s19, s16
	v_mov_b32_e32 v7, 33
	v_mov_b32_e32 v9, v8
	;; [unrolled: 1-line block ×3, first 2 shown]
	v_readfirstlane_b32 s10, v2
	v_readfirstlane_b32 s11, v3
	v_mov_b32_e32 v15, s16
	v_add_co_ci_u32_e32 v14, vcc_lo, 0, v3, vcc_lo
	v_mov_b32_e32 v16, s17
	v_mov_b32_e32 v17, s18
	;; [unrolled: 1-line block ×3, first 2 shown]
	global_store_dwordx4 v48, v[7:10], s[10:11]
	global_store_dwordx4 v48, v[15:18], s[10:11] offset:16
	global_store_dwordx4 v48, v[15:18], s[10:11] offset:32
	;; [unrolled: 1-line block ×3, first 2 shown]
	s_and_saveexec_b32 s5, s4
	s_cbranch_execz .LBB5_657
; %bb.650:
	v_mov_b32_e32 v9, 0
	v_mov_b32_e32 v15, s6
	v_mov_b32_e32 v16, s7
	s_clause 0x1
	global_load_dwordx2 v[17:18], v9, s[26:27] offset:32 glc dlc
	global_load_dwordx2 v[2:3], v9, s[26:27] offset:40
	s_waitcnt vmcnt(0)
	v_readfirstlane_b32 s10, v2
	v_readfirstlane_b32 s11, v3
	s_and_b64 s[10:11], s[10:11], s[6:7]
	s_mul_i32 s11, s11, 24
	s_mul_hi_u32 s16, s10, 24
	s_mul_i32 s10, s10, 24
	s_add_i32 s16, s16, s11
	v_add_co_u32 v7, vcc_lo, v0, s10
	v_add_co_ci_u32_e32 v8, vcc_lo, s16, v1, vcc_lo
	s_mov_b32 s10, exec_lo
	global_store_dwordx2 v[7:8], v[17:18], off
	s_waitcnt_vscnt null, 0x0
	global_atomic_cmpswap_x2 v[2:3], v9, v[15:18], s[26:27] offset:32 glc
	s_waitcnt vmcnt(0)
	v_cmpx_ne_u64_e64 v[2:3], v[17:18]
	s_cbranch_execz .LBB5_653
; %bb.651:
	s_mov_b32 s11, 0
.LBB5_652:                              ; =>This Inner Loop Header: Depth=1
	v_mov_b32_e32 v0, s6
	v_mov_b32_e32 v1, s7
	s_sleep 1
	global_store_dwordx2 v[7:8], v[2:3], off
	s_waitcnt_vscnt null, 0x0
	global_atomic_cmpswap_x2 v[0:1], v9, v[0:3], s[26:27] offset:32 glc
	s_waitcnt vmcnt(0)
	v_cmp_eq_u64_e32 vcc_lo, v[0:1], v[2:3]
	v_mov_b32_e32 v3, v1
	v_mov_b32_e32 v2, v0
	s_or_b32 s11, vcc_lo, s11
	s_andn2_b32 exec_lo, exec_lo, s11
	s_cbranch_execnz .LBB5_652
.LBB5_653:
	s_or_b32 exec_lo, exec_lo, s10
	v_mov_b32_e32 v3, 0
	s_mov_b32 s11, exec_lo
	s_mov_b32 s10, exec_lo
	v_mbcnt_lo_u32_b32 v2, s11, 0
	global_load_dwordx2 v[0:1], v3, s[26:27] offset:16
	v_cmpx_eq_u32_e32 0, v2
	s_cbranch_execz .LBB5_655
; %bb.654:
	s_bcnt1_i32_b32 s11, s11
	v_mov_b32_e32 v2, s11
	s_waitcnt vmcnt(0)
	global_atomic_add_x2 v[0:1], v[2:3], off offset:8
.LBB5_655:
	s_or_b32 exec_lo, exec_lo, s10
	s_waitcnt vmcnt(0)
	global_load_dwordx2 v[2:3], v[0:1], off offset:16
	s_waitcnt vmcnt(0)
	v_cmp_eq_u64_e32 vcc_lo, 0, v[2:3]
	s_cbranch_vccnz .LBB5_657
; %bb.656:
	global_load_dword v0, v[0:1], off offset:24
	v_mov_b32_e32 v1, 0
	s_waitcnt vmcnt(0)
	v_and_b32_e32 v7, 0x7fffff, v0
	s_waitcnt_vscnt null, 0x0
	global_store_dwordx2 v[2:3], v[0:1], off
	v_readfirstlane_b32 m0, v7
	s_sendmsg sendmsg(MSG_INTERRUPT)
.LBB5_657:
	s_or_b32 exec_lo, exec_lo, s5
	s_branch .LBB5_661
	.p2align	6
.LBB5_658:                              ;   in Loop: Header=BB5_661 Depth=1
	s_or_b32 exec_lo, exec_lo, s5
	v_readfirstlane_b32 s5, v0
	s_cmp_eq_u32 s5, 0
	s_cbranch_scc1 .LBB5_660
; %bb.659:                              ;   in Loop: Header=BB5_661 Depth=1
	s_sleep 1
	s_cbranch_execnz .LBB5_661
	s_branch .LBB5_663
	.p2align	6
.LBB5_660:
	s_branch .LBB5_663
.LBB5_661:                              ; =>This Inner Loop Header: Depth=1
	v_mov_b32_e32 v0, 1
	s_and_saveexec_b32 s5, s4
	s_cbranch_execz .LBB5_658
; %bb.662:                              ;   in Loop: Header=BB5_661 Depth=1
	global_load_dword v0, v[11:12], off offset:20 glc dlc
	s_waitcnt vmcnt(0)
	buffer_gl1_inv
	buffer_gl0_inv
	v_and_b32_e32 v0, 1, v0
	s_branch .LBB5_658
.LBB5_663:
	global_load_dwordx2 v[0:1], v[13:14], off
	s_and_saveexec_b32 s5, s4
	s_cbranch_execz .LBB5_667
; %bb.664:
	v_mov_b32_e32 v11, 0
	s_clause 0x2
	global_load_dwordx2 v[2:3], v11, s[26:27] offset:40
	global_load_dwordx2 v[12:13], v11, s[26:27] offset:24 glc dlc
	global_load_dwordx2 v[9:10], v11, s[26:27]
	s_waitcnt vmcnt(2)
	v_add_co_u32 v14, vcc_lo, v2, 1
	v_add_co_ci_u32_e32 v15, vcc_lo, 0, v3, vcc_lo
	v_add_co_u32 v7, vcc_lo, v14, s6
	v_add_co_ci_u32_e32 v8, vcc_lo, s7, v15, vcc_lo
	v_cmp_eq_u64_e32 vcc_lo, 0, v[7:8]
	v_cndmask_b32_e32 v8, v8, v15, vcc_lo
	v_cndmask_b32_e32 v7, v7, v14, vcc_lo
	v_and_b32_e32 v3, v8, v3
	v_and_b32_e32 v2, v7, v2
	v_mul_lo_u32 v3, v3, 24
	v_mul_hi_u32 v14, v2, 24
	v_mul_lo_u32 v2, v2, 24
	v_add_nc_u32_e32 v3, v14, v3
	s_waitcnt vmcnt(0)
	v_add_co_u32 v2, vcc_lo, v9, v2
	v_mov_b32_e32 v9, v12
	v_add_co_ci_u32_e32 v3, vcc_lo, v10, v3, vcc_lo
	v_mov_b32_e32 v10, v13
	global_store_dwordx2 v[2:3], v[12:13], off
	s_waitcnt_vscnt null, 0x0
	global_atomic_cmpswap_x2 v[9:10], v11, v[7:10], s[26:27] offset:24 glc
	s_waitcnt vmcnt(0)
	v_cmp_ne_u64_e32 vcc_lo, v[9:10], v[12:13]
	s_and_b32 exec_lo, exec_lo, vcc_lo
	s_cbranch_execz .LBB5_667
; %bb.665:
	s_mov_b32 s4, 0
.LBB5_666:                              ; =>This Inner Loop Header: Depth=1
	s_sleep 1
	global_store_dwordx2 v[2:3], v[9:10], off
	s_waitcnt_vscnt null, 0x0
	global_atomic_cmpswap_x2 v[12:13], v11, v[7:10], s[26:27] offset:24 glc
	s_waitcnt vmcnt(0)
	v_cmp_eq_u64_e32 vcc_lo, v[12:13], v[9:10]
	v_mov_b32_e32 v9, v12
	v_mov_b32_e32 v10, v13
	s_or_b32 s4, vcc_lo, s4
	s_andn2_b32 exec_lo, exec_lo, s4
	s_cbranch_execnz .LBB5_666
.LBB5_667:
	s_or_b32 exec_lo, exec_lo, s5
	s_and_b32 vcc_lo, exec_lo, s34
	s_cbranch_vccz .LBB5_746
; %bb.668:
	s_waitcnt vmcnt(0)
	v_and_b32_e32 v34, 2, v0
	v_mov_b32_e32 v11, 0
	v_and_b32_e32 v7, -3, v0
	v_mov_b32_e32 v8, v1
	v_mov_b32_e32 v12, 2
	;; [unrolled: 1-line block ×3, first 2 shown]
	s_mov_b64 s[10:11], 3
	s_getpc_b64 s[6:7]
	s_add_u32 s6, s6, .str.9@rel32@lo+4
	s_addc_u32 s7, s7, .str.9@rel32@hi+12
	s_branch .LBB5_670
.LBB5_669:                              ;   in Loop: Header=BB5_670 Depth=1
	s_or_b32 exec_lo, exec_lo, s5
	s_sub_u32 s10, s10, s16
	s_subb_u32 s11, s11, s17
	s_add_u32 s6, s6, s16
	s_addc_u32 s7, s7, s17
	s_cmp_lg_u64 s[10:11], 0
	s_cbranch_scc0 .LBB5_745
.LBB5_670:                              ; =>This Loop Header: Depth=1
                                        ;     Child Loop BB5_679 Depth 2
                                        ;     Child Loop BB5_675 Depth 2
	;; [unrolled: 1-line block ×11, first 2 shown]
	v_cmp_lt_u64_e64 s4, s[10:11], 56
	v_cmp_gt_u64_e64 s5, s[10:11], 7
                                        ; implicit-def: $vgpr16_vgpr17
                                        ; implicit-def: $sgpr22
	s_and_b32 s4, s4, exec_lo
	s_cselect_b32 s17, s11, 0
	s_cselect_b32 s16, s10, 56
	s_and_b32 vcc_lo, exec_lo, s5
	s_mov_b32 s4, -1
	s_cbranch_vccz .LBB5_677
; %bb.671:                              ;   in Loop: Header=BB5_670 Depth=1
	s_andn2_b32 vcc_lo, exec_lo, s4
	s_mov_b64 s[4:5], s[6:7]
	s_cbranch_vccz .LBB5_681
.LBB5_672:                              ;   in Loop: Header=BB5_670 Depth=1
	s_cmp_gt_u32 s22, 7
	s_cbranch_scc1 .LBB5_682
.LBB5_673:                              ;   in Loop: Header=BB5_670 Depth=1
	v_mov_b32_e32 v18, 0
	v_mov_b32_e32 v19, 0
	s_cmp_eq_u32 s22, 0
	s_cbranch_scc1 .LBB5_676
; %bb.674:                              ;   in Loop: Header=BB5_670 Depth=1
	s_mov_b64 s[18:19], 0
	s_mov_b64 s[20:21], 0
.LBB5_675:                              ;   Parent Loop BB5_670 Depth=1
                                        ; =>  This Inner Loop Header: Depth=2
	s_add_u32 s24, s4, s20
	s_addc_u32 s25, s5, s21
	s_add_u32 s20, s20, 1
	global_load_ubyte v2, v11, s[24:25]
	s_addc_u32 s21, s21, 0
	s_waitcnt vmcnt(0)
	v_and_b32_e32 v10, 0xffff, v2
	v_lshlrev_b64 v[2:3], s18, v[10:11]
	s_add_u32 s18, s18, 8
	s_addc_u32 s19, s19, 0
	s_cmp_lg_u32 s22, s20
	v_or_b32_e32 v18, v2, v18
	v_or_b32_e32 v19, v3, v19
	s_cbranch_scc1 .LBB5_675
.LBB5_676:                              ;   in Loop: Header=BB5_670 Depth=1
	s_mov_b32 s23, 0
	s_cbranch_execz .LBB5_683
	s_branch .LBB5_684
.LBB5_677:                              ;   in Loop: Header=BB5_670 Depth=1
	v_mov_b32_e32 v16, 0
	v_mov_b32_e32 v17, 0
	s_cmp_eq_u64 s[10:11], 0
	s_mov_b64 s[4:5], 0
	s_cbranch_scc1 .LBB5_680
; %bb.678:                              ;   in Loop: Header=BB5_670 Depth=1
	v_mov_b32_e32 v16, 0
	v_mov_b32_e32 v17, 0
	s_lshl_b64 s[18:19], s[16:17], 3
	s_mov_b64 s[20:21], s[6:7]
.LBB5_679:                              ;   Parent Loop BB5_670 Depth=1
                                        ; =>  This Inner Loop Header: Depth=2
	global_load_ubyte v2, v11, s[20:21]
	s_waitcnt vmcnt(0)
	v_and_b32_e32 v10, 0xffff, v2
	v_lshlrev_b64 v[2:3], s4, v[10:11]
	s_add_u32 s4, s4, 8
	s_addc_u32 s5, s5, 0
	s_add_u32 s20, s20, 1
	s_addc_u32 s21, s21, 0
	s_cmp_lg_u32 s18, s4
	v_or_b32_e32 v16, v2, v16
	v_or_b32_e32 v17, v3, v17
	s_cbranch_scc1 .LBB5_679
.LBB5_680:                              ;   in Loop: Header=BB5_670 Depth=1
	s_mov_b32 s22, 0
	s_mov_b64 s[4:5], s[6:7]
	s_cbranch_execnz .LBB5_672
.LBB5_681:                              ;   in Loop: Header=BB5_670 Depth=1
	global_load_dwordx2 v[16:17], v11, s[6:7]
	s_add_i32 s22, s16, -8
	s_add_u32 s4, s6, 8
	s_addc_u32 s5, s7, 0
	s_cmp_gt_u32 s22, 7
	s_cbranch_scc0 .LBB5_673
.LBB5_682:                              ;   in Loop: Header=BB5_670 Depth=1
                                        ; implicit-def: $vgpr18_vgpr19
                                        ; implicit-def: $sgpr23
.LBB5_683:                              ;   in Loop: Header=BB5_670 Depth=1
	global_load_dwordx2 v[18:19], v11, s[4:5]
	s_add_i32 s23, s22, -8
	s_add_u32 s4, s4, 8
	s_addc_u32 s5, s5, 0
.LBB5_684:                              ;   in Loop: Header=BB5_670 Depth=1
	s_cmp_gt_u32 s23, 7
	s_cbranch_scc1 .LBB5_689
; %bb.685:                              ;   in Loop: Header=BB5_670 Depth=1
	v_mov_b32_e32 v20, 0
	v_mov_b32_e32 v21, 0
	s_cmp_eq_u32 s23, 0
	s_cbranch_scc1 .LBB5_688
; %bb.686:                              ;   in Loop: Header=BB5_670 Depth=1
	s_mov_b64 s[18:19], 0
	s_mov_b64 s[20:21], 0
.LBB5_687:                              ;   Parent Loop BB5_670 Depth=1
                                        ; =>  This Inner Loop Header: Depth=2
	s_add_u32 s24, s4, s20
	s_addc_u32 s25, s5, s21
	s_add_u32 s20, s20, 1
	global_load_ubyte v2, v11, s[24:25]
	s_addc_u32 s21, s21, 0
	s_waitcnt vmcnt(0)
	v_and_b32_e32 v10, 0xffff, v2
	v_lshlrev_b64 v[2:3], s18, v[10:11]
	s_add_u32 s18, s18, 8
	s_addc_u32 s19, s19, 0
	s_cmp_lg_u32 s23, s20
	v_or_b32_e32 v20, v2, v20
	v_or_b32_e32 v21, v3, v21
	s_cbranch_scc1 .LBB5_687
.LBB5_688:                              ;   in Loop: Header=BB5_670 Depth=1
	s_mov_b32 s22, 0
	s_cbranch_execz .LBB5_690
	s_branch .LBB5_691
.LBB5_689:                              ;   in Loop: Header=BB5_670 Depth=1
                                        ; implicit-def: $sgpr22
.LBB5_690:                              ;   in Loop: Header=BB5_670 Depth=1
	global_load_dwordx2 v[20:21], v11, s[4:5]
	s_add_i32 s22, s23, -8
	s_add_u32 s4, s4, 8
	s_addc_u32 s5, s5, 0
.LBB5_691:                              ;   in Loop: Header=BB5_670 Depth=1
	s_cmp_gt_u32 s22, 7
	s_cbranch_scc1 .LBB5_696
; %bb.692:                              ;   in Loop: Header=BB5_670 Depth=1
	v_mov_b32_e32 v22, 0
	v_mov_b32_e32 v23, 0
	s_cmp_eq_u32 s22, 0
	s_cbranch_scc1 .LBB5_695
; %bb.693:                              ;   in Loop: Header=BB5_670 Depth=1
	s_mov_b64 s[18:19], 0
	s_mov_b64 s[20:21], 0
.LBB5_694:                              ;   Parent Loop BB5_670 Depth=1
                                        ; =>  This Inner Loop Header: Depth=2
	s_add_u32 s24, s4, s20
	s_addc_u32 s25, s5, s21
	s_add_u32 s20, s20, 1
	global_load_ubyte v2, v11, s[24:25]
	s_addc_u32 s21, s21, 0
	s_waitcnt vmcnt(0)
	v_and_b32_e32 v10, 0xffff, v2
	v_lshlrev_b64 v[2:3], s18, v[10:11]
	s_add_u32 s18, s18, 8
	s_addc_u32 s19, s19, 0
	s_cmp_lg_u32 s22, s20
	v_or_b32_e32 v22, v2, v22
	v_or_b32_e32 v23, v3, v23
	s_cbranch_scc1 .LBB5_694
.LBB5_695:                              ;   in Loop: Header=BB5_670 Depth=1
	s_mov_b32 s23, 0
	s_cbranch_execz .LBB5_697
	s_branch .LBB5_698
.LBB5_696:                              ;   in Loop: Header=BB5_670 Depth=1
                                        ; implicit-def: $vgpr22_vgpr23
                                        ; implicit-def: $sgpr23
.LBB5_697:                              ;   in Loop: Header=BB5_670 Depth=1
	global_load_dwordx2 v[22:23], v11, s[4:5]
	s_add_i32 s23, s22, -8
	s_add_u32 s4, s4, 8
	s_addc_u32 s5, s5, 0
.LBB5_698:                              ;   in Loop: Header=BB5_670 Depth=1
	s_cmp_gt_u32 s23, 7
	s_cbranch_scc1 .LBB5_703
; %bb.699:                              ;   in Loop: Header=BB5_670 Depth=1
	v_mov_b32_e32 v24, 0
	v_mov_b32_e32 v25, 0
	s_cmp_eq_u32 s23, 0
	s_cbranch_scc1 .LBB5_702
; %bb.700:                              ;   in Loop: Header=BB5_670 Depth=1
	s_mov_b64 s[18:19], 0
	s_mov_b64 s[20:21], 0
.LBB5_701:                              ;   Parent Loop BB5_670 Depth=1
                                        ; =>  This Inner Loop Header: Depth=2
	s_add_u32 s24, s4, s20
	s_addc_u32 s25, s5, s21
	s_add_u32 s20, s20, 1
	global_load_ubyte v2, v11, s[24:25]
	s_addc_u32 s21, s21, 0
	s_waitcnt vmcnt(0)
	v_and_b32_e32 v10, 0xffff, v2
	v_lshlrev_b64 v[2:3], s18, v[10:11]
	s_add_u32 s18, s18, 8
	s_addc_u32 s19, s19, 0
	s_cmp_lg_u32 s23, s20
	v_or_b32_e32 v24, v2, v24
	v_or_b32_e32 v25, v3, v25
	s_cbranch_scc1 .LBB5_701
.LBB5_702:                              ;   in Loop: Header=BB5_670 Depth=1
	s_mov_b32 s22, 0
	s_cbranch_execz .LBB5_704
	s_branch .LBB5_705
.LBB5_703:                              ;   in Loop: Header=BB5_670 Depth=1
                                        ; implicit-def: $sgpr22
.LBB5_704:                              ;   in Loop: Header=BB5_670 Depth=1
	global_load_dwordx2 v[24:25], v11, s[4:5]
	s_add_i32 s22, s23, -8
	s_add_u32 s4, s4, 8
	s_addc_u32 s5, s5, 0
.LBB5_705:                              ;   in Loop: Header=BB5_670 Depth=1
	s_cmp_gt_u32 s22, 7
	s_cbranch_scc1 .LBB5_710
; %bb.706:                              ;   in Loop: Header=BB5_670 Depth=1
	v_mov_b32_e32 v26, 0
	v_mov_b32_e32 v27, 0
	s_cmp_eq_u32 s22, 0
	s_cbranch_scc1 .LBB5_709
; %bb.707:                              ;   in Loop: Header=BB5_670 Depth=1
	s_mov_b64 s[18:19], 0
	s_mov_b64 s[20:21], 0
.LBB5_708:                              ;   Parent Loop BB5_670 Depth=1
                                        ; =>  This Inner Loop Header: Depth=2
	s_add_u32 s24, s4, s20
	s_addc_u32 s25, s5, s21
	s_add_u32 s20, s20, 1
	global_load_ubyte v2, v11, s[24:25]
	s_addc_u32 s21, s21, 0
	s_waitcnt vmcnt(0)
	v_and_b32_e32 v10, 0xffff, v2
	v_lshlrev_b64 v[2:3], s18, v[10:11]
	s_add_u32 s18, s18, 8
	s_addc_u32 s19, s19, 0
	s_cmp_lg_u32 s22, s20
	v_or_b32_e32 v26, v2, v26
	v_or_b32_e32 v27, v3, v27
	s_cbranch_scc1 .LBB5_708
.LBB5_709:                              ;   in Loop: Header=BB5_670 Depth=1
	s_mov_b32 s23, 0
	s_cbranch_execz .LBB5_711
	s_branch .LBB5_712
.LBB5_710:                              ;   in Loop: Header=BB5_670 Depth=1
                                        ; implicit-def: $vgpr26_vgpr27
                                        ; implicit-def: $sgpr23
.LBB5_711:                              ;   in Loop: Header=BB5_670 Depth=1
	global_load_dwordx2 v[26:27], v11, s[4:5]
	s_add_i32 s23, s22, -8
	s_add_u32 s4, s4, 8
	s_addc_u32 s5, s5, 0
.LBB5_712:                              ;   in Loop: Header=BB5_670 Depth=1
	s_cmp_gt_u32 s23, 7
	s_cbranch_scc1 .LBB5_717
; %bb.713:                              ;   in Loop: Header=BB5_670 Depth=1
	v_mov_b32_e32 v28, 0
	v_mov_b32_e32 v29, 0
	s_cmp_eq_u32 s23, 0
	s_cbranch_scc1 .LBB5_716
; %bb.714:                              ;   in Loop: Header=BB5_670 Depth=1
	s_mov_b64 s[18:19], 0
	s_mov_b64 s[20:21], s[4:5]
.LBB5_715:                              ;   Parent Loop BB5_670 Depth=1
                                        ; =>  This Inner Loop Header: Depth=2
	global_load_ubyte v2, v11, s[20:21]
	s_add_i32 s23, s23, -1
	s_waitcnt vmcnt(0)
	v_and_b32_e32 v10, 0xffff, v2
	v_lshlrev_b64 v[2:3], s18, v[10:11]
	s_add_u32 s18, s18, 8
	s_addc_u32 s19, s19, 0
	s_add_u32 s20, s20, 1
	s_addc_u32 s21, s21, 0
	s_cmp_lg_u32 s23, 0
	v_or_b32_e32 v28, v2, v28
	v_or_b32_e32 v29, v3, v29
	s_cbranch_scc1 .LBB5_715
.LBB5_716:                              ;   in Loop: Header=BB5_670 Depth=1
	s_cbranch_execz .LBB5_718
	s_branch .LBB5_719
.LBB5_717:                              ;   in Loop: Header=BB5_670 Depth=1
.LBB5_718:                              ;   in Loop: Header=BB5_670 Depth=1
	global_load_dwordx2 v[28:29], v11, s[4:5]
.LBB5_719:                              ;   in Loop: Header=BB5_670 Depth=1
	v_readfirstlane_b32 s4, v49
	v_mov_b32_e32 v2, 0
	v_mov_b32_e32 v3, 0
	v_cmp_eq_u32_e64 s4, s4, v49
	s_and_saveexec_b32 s5, s4
	s_cbranch_execz .LBB5_725
; %bb.720:                              ;   in Loop: Header=BB5_670 Depth=1
	global_load_dwordx2 v[32:33], v11, s[26:27] offset:24 glc dlc
	s_waitcnt vmcnt(0)
	buffer_gl1_inv
	buffer_gl0_inv
	s_clause 0x1
	global_load_dwordx2 v[2:3], v11, s[26:27] offset:40
	global_load_dwordx2 v[9:10], v11, s[26:27]
	s_mov_b32 s18, exec_lo
	s_waitcnt vmcnt(1)
	v_and_b32_e32 v3, v3, v33
	v_and_b32_e32 v2, v2, v32
	v_mul_lo_u32 v3, v3, 24
	v_mul_hi_u32 v14, v2, 24
	v_mul_lo_u32 v2, v2, 24
	v_add_nc_u32_e32 v3, v14, v3
	s_waitcnt vmcnt(0)
	v_add_co_u32 v2, vcc_lo, v9, v2
	v_add_co_ci_u32_e32 v3, vcc_lo, v10, v3, vcc_lo
	global_load_dwordx2 v[30:31], v[2:3], off glc dlc
	s_waitcnt vmcnt(0)
	global_atomic_cmpswap_x2 v[2:3], v11, v[30:33], s[26:27] offset:24 glc
	s_waitcnt vmcnt(0)
	buffer_gl1_inv
	buffer_gl0_inv
	v_cmpx_ne_u64_e64 v[2:3], v[32:33]
	s_cbranch_execz .LBB5_724
; %bb.721:                              ;   in Loop: Header=BB5_670 Depth=1
	s_mov_b32 s19, 0
	.p2align	6
.LBB5_722:                              ;   Parent Loop BB5_670 Depth=1
                                        ; =>  This Inner Loop Header: Depth=2
	s_sleep 1
	s_clause 0x1
	global_load_dwordx2 v[9:10], v11, s[26:27] offset:40
	global_load_dwordx2 v[14:15], v11, s[26:27]
	v_mov_b32_e32 v33, v3
	v_mov_b32_e32 v32, v2
	s_waitcnt vmcnt(1)
	v_and_b32_e32 v2, v9, v32
	v_and_b32_e32 v9, v10, v33
	s_waitcnt vmcnt(0)
	v_mad_u64_u32 v[2:3], null, v2, 24, v[14:15]
	v_mad_u64_u32 v[9:10], null, v9, 24, v[3:4]
	v_mov_b32_e32 v3, v9
	global_load_dwordx2 v[30:31], v[2:3], off glc dlc
	s_waitcnt vmcnt(0)
	global_atomic_cmpswap_x2 v[2:3], v11, v[30:33], s[26:27] offset:24 glc
	s_waitcnt vmcnt(0)
	buffer_gl1_inv
	buffer_gl0_inv
	v_cmp_eq_u64_e32 vcc_lo, v[2:3], v[32:33]
	s_or_b32 s19, vcc_lo, s19
	s_andn2_b32 exec_lo, exec_lo, s19
	s_cbranch_execnz .LBB5_722
; %bb.723:                              ;   in Loop: Header=BB5_670 Depth=1
	s_or_b32 exec_lo, exec_lo, s19
.LBB5_724:                              ;   in Loop: Header=BB5_670 Depth=1
	s_or_b32 exec_lo, exec_lo, s18
.LBB5_725:                              ;   in Loop: Header=BB5_670 Depth=1
	s_or_b32 exec_lo, exec_lo, s5
	s_clause 0x1
	global_load_dwordx2 v[9:10], v11, s[26:27] offset:40
	global_load_dwordx4 v[30:33], v11, s[26:27]
	v_readfirstlane_b32 s18, v2
	v_readfirstlane_b32 s19, v3
	s_mov_b32 s5, exec_lo
	s_waitcnt vmcnt(1)
	v_readfirstlane_b32 s20, v9
	v_readfirstlane_b32 s21, v10
	s_and_b64 s[20:21], s[18:19], s[20:21]
	s_mul_i32 s22, s21, 24
	s_mul_hi_u32 s23, s20, 24
	s_mul_i32 s24, s20, 24
	s_add_i32 s23, s23, s22
	s_waitcnt vmcnt(0)
	v_add_co_u32 v2, vcc_lo, v30, s24
	v_add_co_ci_u32_e32 v3, vcc_lo, s23, v31, vcc_lo
	s_and_saveexec_b32 s22, s4
	s_cbranch_execz .LBB5_727
; %bb.726:                              ;   in Loop: Header=BB5_670 Depth=1
	v_mov_b32_e32 v10, s5
	global_store_dwordx4 v[2:3], v[10:13], off offset:8
.LBB5_727:                              ;   in Loop: Header=BB5_670 Depth=1
	s_or_b32 exec_lo, exec_lo, s22
	s_lshl_b64 s[20:21], s[20:21], 12
	v_cmp_gt_u64_e64 vcc_lo, s[10:11], 56
	v_or_b32_e32 v10, v7, v34
	v_add_co_u32 v32, s5, v32, s20
	v_add_co_ci_u32_e64 v33, s5, s21, v33, s5
	s_lshl_b32 s5, s16, 2
	v_or_b32_e32 v9, 0, v8
	v_cndmask_b32_e32 v7, v10, v7, vcc_lo
	s_add_i32 s5, s5, 28
	v_readfirstlane_b32 s20, v32
	s_and_b32 s5, s5, 0x1e0
	v_cndmask_b32_e32 v15, v9, v8, vcc_lo
	v_readfirstlane_b32 s21, v33
	v_and_or_b32 v14, 0xffffff1f, v7, s5
	global_store_dwordx4 v48, v[14:17], s[20:21]
	global_store_dwordx4 v48, v[18:21], s[20:21] offset:16
	global_store_dwordx4 v48, v[22:25], s[20:21] offset:32
	;; [unrolled: 1-line block ×3, first 2 shown]
	s_and_saveexec_b32 s5, s4
	s_cbranch_execz .LBB5_735
; %bb.728:                              ;   in Loop: Header=BB5_670 Depth=1
	s_clause 0x1
	global_load_dwordx2 v[18:19], v11, s[26:27] offset:32 glc dlc
	global_load_dwordx2 v[7:8], v11, s[26:27] offset:40
	v_mov_b32_e32 v16, s18
	v_mov_b32_e32 v17, s19
	s_waitcnt vmcnt(0)
	v_readfirstlane_b32 s20, v7
	v_readfirstlane_b32 s21, v8
	s_and_b64 s[20:21], s[20:21], s[18:19]
	s_mul_i32 s21, s21, 24
	s_mul_hi_u32 s22, s20, 24
	s_mul_i32 s20, s20, 24
	s_add_i32 s22, s22, s21
	v_add_co_u32 v14, vcc_lo, v30, s20
	v_add_co_ci_u32_e32 v15, vcc_lo, s22, v31, vcc_lo
	s_mov_b32 s20, exec_lo
	global_store_dwordx2 v[14:15], v[18:19], off
	s_waitcnt_vscnt null, 0x0
	global_atomic_cmpswap_x2 v[9:10], v11, v[16:19], s[26:27] offset:32 glc
	s_waitcnt vmcnt(0)
	v_cmpx_ne_u64_e64 v[9:10], v[18:19]
	s_cbranch_execz .LBB5_731
; %bb.729:                              ;   in Loop: Header=BB5_670 Depth=1
	s_mov_b32 s21, 0
.LBB5_730:                              ;   Parent Loop BB5_670 Depth=1
                                        ; =>  This Inner Loop Header: Depth=2
	v_mov_b32_e32 v7, s18
	v_mov_b32_e32 v8, s19
	s_sleep 1
	global_store_dwordx2 v[14:15], v[9:10], off
	s_waitcnt_vscnt null, 0x0
	global_atomic_cmpswap_x2 v[7:8], v11, v[7:10], s[26:27] offset:32 glc
	s_waitcnt vmcnt(0)
	v_cmp_eq_u64_e32 vcc_lo, v[7:8], v[9:10]
	v_mov_b32_e32 v10, v8
	v_mov_b32_e32 v9, v7
	s_or_b32 s21, vcc_lo, s21
	s_andn2_b32 exec_lo, exec_lo, s21
	s_cbranch_execnz .LBB5_730
.LBB5_731:                              ;   in Loop: Header=BB5_670 Depth=1
	s_or_b32 exec_lo, exec_lo, s20
	global_load_dwordx2 v[7:8], v11, s[26:27] offset:16
	s_mov_b32 s21, exec_lo
	s_mov_b32 s20, exec_lo
	v_mbcnt_lo_u32_b32 v9, s21, 0
	v_cmpx_eq_u32_e32 0, v9
	s_cbranch_execz .LBB5_733
; %bb.732:                              ;   in Loop: Header=BB5_670 Depth=1
	s_bcnt1_i32_b32 s21, s21
	v_mov_b32_e32 v10, s21
	s_waitcnt vmcnt(0)
	global_atomic_add_x2 v[7:8], v[10:11], off offset:8
.LBB5_733:                              ;   in Loop: Header=BB5_670 Depth=1
	s_or_b32 exec_lo, exec_lo, s20
	s_waitcnt vmcnt(0)
	global_load_dwordx2 v[14:15], v[7:8], off offset:16
	s_waitcnt vmcnt(0)
	v_cmp_eq_u64_e32 vcc_lo, 0, v[14:15]
	s_cbranch_vccnz .LBB5_735
; %bb.734:                              ;   in Loop: Header=BB5_670 Depth=1
	global_load_dword v10, v[7:8], off offset:24
	s_waitcnt vmcnt(0)
	v_and_b32_e32 v7, 0x7fffff, v10
	s_waitcnt_vscnt null, 0x0
	global_store_dwordx2 v[14:15], v[10:11], off
	v_readfirstlane_b32 m0, v7
	s_sendmsg sendmsg(MSG_INTERRUPT)
.LBB5_735:                              ;   in Loop: Header=BB5_670 Depth=1
	s_or_b32 exec_lo, exec_lo, s5
	v_add_co_u32 v7, vcc_lo, v32, v48
	v_add_co_ci_u32_e32 v8, vcc_lo, 0, v33, vcc_lo
	s_branch .LBB5_739
	.p2align	6
.LBB5_736:                              ;   in Loop: Header=BB5_739 Depth=2
	s_or_b32 exec_lo, exec_lo, s5
	v_readfirstlane_b32 s5, v9
	s_cmp_eq_u32 s5, 0
	s_cbranch_scc1 .LBB5_738
; %bb.737:                              ;   in Loop: Header=BB5_739 Depth=2
	s_sleep 1
	s_cbranch_execnz .LBB5_739
	s_branch .LBB5_741
	.p2align	6
.LBB5_738:                              ;   in Loop: Header=BB5_670 Depth=1
	s_branch .LBB5_741
.LBB5_739:                              ;   Parent Loop BB5_670 Depth=1
                                        ; =>  This Inner Loop Header: Depth=2
	v_mov_b32_e32 v9, 1
	s_and_saveexec_b32 s5, s4
	s_cbranch_execz .LBB5_736
; %bb.740:                              ;   in Loop: Header=BB5_739 Depth=2
	global_load_dword v9, v[2:3], off offset:20 glc dlc
	s_waitcnt vmcnt(0)
	buffer_gl1_inv
	buffer_gl0_inv
	v_and_b32_e32 v9, 1, v9
	s_branch .LBB5_736
.LBB5_741:                              ;   in Loop: Header=BB5_670 Depth=1
	global_load_dwordx4 v[7:10], v[7:8], off
	s_and_saveexec_b32 s5, s4
	s_cbranch_execz .LBB5_669
; %bb.742:                              ;   in Loop: Header=BB5_670 Depth=1
	s_clause 0x2
	global_load_dwordx2 v[2:3], v11, s[26:27] offset:40
	global_load_dwordx2 v[9:10], v11, s[26:27] offset:24 glc dlc
	global_load_dwordx2 v[16:17], v11, s[26:27]
	s_waitcnt vmcnt(2)
	v_add_co_u32 v18, vcc_lo, v2, 1
	v_add_co_ci_u32_e32 v19, vcc_lo, 0, v3, vcc_lo
	v_add_co_u32 v14, vcc_lo, v18, s18
	v_add_co_ci_u32_e32 v15, vcc_lo, s19, v19, vcc_lo
	v_cmp_eq_u64_e32 vcc_lo, 0, v[14:15]
	v_cndmask_b32_e32 v15, v15, v19, vcc_lo
	v_cndmask_b32_e32 v14, v14, v18, vcc_lo
	v_and_b32_e32 v3, v15, v3
	v_and_b32_e32 v2, v14, v2
	v_mul_lo_u32 v3, v3, 24
	v_mul_hi_u32 v18, v2, 24
	v_mul_lo_u32 v2, v2, 24
	v_add_nc_u32_e32 v3, v18, v3
	s_waitcnt vmcnt(0)
	v_add_co_u32 v2, vcc_lo, v16, v2
	v_mov_b32_e32 v16, v9
	v_add_co_ci_u32_e32 v3, vcc_lo, v17, v3, vcc_lo
	v_mov_b32_e32 v17, v10
	global_store_dwordx2 v[2:3], v[9:10], off
	s_waitcnt_vscnt null, 0x0
	global_atomic_cmpswap_x2 v[16:17], v11, v[14:17], s[26:27] offset:24 glc
	s_waitcnt vmcnt(0)
	v_cmp_ne_u64_e32 vcc_lo, v[16:17], v[9:10]
	s_and_b32 exec_lo, exec_lo, vcc_lo
	s_cbranch_execz .LBB5_669
; %bb.743:                              ;   in Loop: Header=BB5_670 Depth=1
	s_mov_b32 s4, 0
.LBB5_744:                              ;   Parent Loop BB5_670 Depth=1
                                        ; =>  This Inner Loop Header: Depth=2
	s_sleep 1
	global_store_dwordx2 v[2:3], v[16:17], off
	s_waitcnt_vscnt null, 0x0
	global_atomic_cmpswap_x2 v[9:10], v11, v[14:17], s[26:27] offset:24 glc
	s_waitcnt vmcnt(0)
	v_cmp_eq_u64_e32 vcc_lo, v[9:10], v[16:17]
	v_mov_b32_e32 v17, v10
	v_mov_b32_e32 v16, v9
	s_or_b32 s4, vcc_lo, s4
	s_andn2_b32 exec_lo, exec_lo, s4
	s_cbranch_execnz .LBB5_744
	s_branch .LBB5_669
.LBB5_745:
	s_branch .LBB5_774
.LBB5_746:
                                        ; implicit-def: $vgpr7_vgpr8
	s_cbranch_execz .LBB5_774
; %bb.747:
	v_readfirstlane_b32 s4, v49
	v_mov_b32_e32 v11, 0
	v_mov_b32_e32 v12, 0
	v_cmp_eq_u32_e64 s4, s4, v49
	s_and_saveexec_b32 s5, s4
	s_cbranch_execz .LBB5_753
; %bb.748:
	v_mov_b32_e32 v2, 0
	s_mov_b32 s6, exec_lo
	global_load_dwordx2 v[9:10], v2, s[26:27] offset:24 glc dlc
	s_waitcnt vmcnt(0)
	buffer_gl1_inv
	buffer_gl0_inv
	s_clause 0x1
	global_load_dwordx2 v[7:8], v2, s[26:27] offset:40
	global_load_dwordx2 v[11:12], v2, s[26:27]
	s_waitcnt vmcnt(1)
	v_and_b32_e32 v3, v8, v10
	v_and_b32_e32 v7, v7, v9
	v_mul_lo_u32 v3, v3, 24
	v_mul_hi_u32 v8, v7, 24
	v_mul_lo_u32 v7, v7, 24
	v_add_nc_u32_e32 v3, v8, v3
	s_waitcnt vmcnt(0)
	v_add_co_u32 v7, vcc_lo, v11, v7
	v_add_co_ci_u32_e32 v8, vcc_lo, v12, v3, vcc_lo
	global_load_dwordx2 v[7:8], v[7:8], off glc dlc
	s_waitcnt vmcnt(0)
	global_atomic_cmpswap_x2 v[11:12], v2, v[7:10], s[26:27] offset:24 glc
	s_waitcnt vmcnt(0)
	buffer_gl1_inv
	buffer_gl0_inv
	v_cmpx_ne_u64_e64 v[11:12], v[9:10]
	s_cbranch_execz .LBB5_752
; %bb.749:
	s_mov_b32 s7, 0
	.p2align	6
.LBB5_750:                              ; =>This Inner Loop Header: Depth=1
	s_sleep 1
	s_clause 0x1
	global_load_dwordx2 v[7:8], v2, s[26:27] offset:40
	global_load_dwordx2 v[13:14], v2, s[26:27]
	v_mov_b32_e32 v9, v11
	v_mov_b32_e32 v10, v12
	s_waitcnt vmcnt(1)
	v_and_b32_e32 v3, v7, v9
	v_and_b32_e32 v7, v8, v10
	s_waitcnt vmcnt(0)
	v_mad_u64_u32 v[11:12], null, v3, 24, v[13:14]
	v_mov_b32_e32 v3, v12
	v_mad_u64_u32 v[7:8], null, v7, 24, v[3:4]
	v_mov_b32_e32 v12, v7
	global_load_dwordx2 v[7:8], v[11:12], off glc dlc
	s_waitcnt vmcnt(0)
	global_atomic_cmpswap_x2 v[11:12], v2, v[7:10], s[26:27] offset:24 glc
	s_waitcnt vmcnt(0)
	buffer_gl1_inv
	buffer_gl0_inv
	v_cmp_eq_u64_e32 vcc_lo, v[11:12], v[9:10]
	s_or_b32 s7, vcc_lo, s7
	s_andn2_b32 exec_lo, exec_lo, s7
	s_cbranch_execnz .LBB5_750
; %bb.751:
	s_or_b32 exec_lo, exec_lo, s7
.LBB5_752:
	s_or_b32 exec_lo, exec_lo, s6
.LBB5_753:
	s_or_b32 exec_lo, exec_lo, s5
	v_mov_b32_e32 v2, 0
	v_readfirstlane_b32 s6, v11
	v_readfirstlane_b32 s7, v12
	s_mov_b32 s5, exec_lo
	s_clause 0x1
	global_load_dwordx2 v[13:14], v2, s[26:27] offset:40
	global_load_dwordx4 v[7:10], v2, s[26:27]
	s_waitcnt vmcnt(1)
	v_readfirstlane_b32 s10, v13
	v_readfirstlane_b32 s11, v14
	s_and_b64 s[10:11], s[6:7], s[10:11]
	s_mul_i32 s16, s11, 24
	s_mul_hi_u32 s17, s10, 24
	s_mul_i32 s18, s10, 24
	s_add_i32 s17, s17, s16
	s_waitcnt vmcnt(0)
	v_add_co_u32 v11, vcc_lo, v7, s18
	v_add_co_ci_u32_e32 v12, vcc_lo, s17, v8, vcc_lo
	s_and_saveexec_b32 s16, s4
	s_cbranch_execz .LBB5_755
; %bb.754:
	v_mov_b32_e32 v13, s5
	v_mov_b32_e32 v14, v2
	;; [unrolled: 1-line block ×4, first 2 shown]
	global_store_dwordx4 v[11:12], v[13:16], off offset:8
.LBB5_755:
	s_or_b32 exec_lo, exec_lo, s16
	s_lshl_b64 s[10:11], s[10:11], 12
	s_mov_b32 s16, 0
	v_add_co_u32 v9, vcc_lo, v9, s10
	v_add_co_ci_u32_e32 v10, vcc_lo, s11, v10, vcc_lo
	s_mov_b32 s17, s16
	v_readfirstlane_b32 s10, v9
	v_add_co_u32 v9, vcc_lo, v9, v48
	s_mov_b32 s18, s16
	s_mov_b32 s19, s16
	v_and_or_b32 v0, 0xffffff1f, v0, 32
	v_mov_b32_e32 v3, v2
	v_readfirstlane_b32 s11, v10
	v_mov_b32_e32 v13, s16
	v_add_co_ci_u32_e32 v10, vcc_lo, 0, v10, vcc_lo
	v_mov_b32_e32 v14, s17
	v_mov_b32_e32 v15, s18
	;; [unrolled: 1-line block ×3, first 2 shown]
	global_store_dwordx4 v48, v[0:3], s[10:11]
	global_store_dwordx4 v48, v[13:16], s[10:11] offset:16
	global_store_dwordx4 v48, v[13:16], s[10:11] offset:32
	;; [unrolled: 1-line block ×3, first 2 shown]
	s_and_saveexec_b32 s5, s4
	s_cbranch_execz .LBB5_763
; %bb.756:
	v_mov_b32_e32 v13, 0
	v_mov_b32_e32 v14, s6
	;; [unrolled: 1-line block ×3, first 2 shown]
	s_clause 0x1
	global_load_dwordx2 v[16:17], v13, s[26:27] offset:32 glc dlc
	global_load_dwordx2 v[0:1], v13, s[26:27] offset:40
	s_waitcnt vmcnt(0)
	v_readfirstlane_b32 s10, v0
	v_readfirstlane_b32 s11, v1
	s_and_b64 s[10:11], s[10:11], s[6:7]
	s_mul_i32 s11, s11, 24
	s_mul_hi_u32 s16, s10, 24
	s_mul_i32 s10, s10, 24
	s_add_i32 s16, s16, s11
	v_add_co_u32 v7, vcc_lo, v7, s10
	v_add_co_ci_u32_e32 v8, vcc_lo, s16, v8, vcc_lo
	s_mov_b32 s10, exec_lo
	global_store_dwordx2 v[7:8], v[16:17], off
	s_waitcnt_vscnt null, 0x0
	global_atomic_cmpswap_x2 v[2:3], v13, v[14:17], s[26:27] offset:32 glc
	s_waitcnt vmcnt(0)
	v_cmpx_ne_u64_e64 v[2:3], v[16:17]
	s_cbranch_execz .LBB5_759
; %bb.757:
	s_mov_b32 s11, 0
.LBB5_758:                              ; =>This Inner Loop Header: Depth=1
	v_mov_b32_e32 v0, s6
	v_mov_b32_e32 v1, s7
	s_sleep 1
	global_store_dwordx2 v[7:8], v[2:3], off
	s_waitcnt_vscnt null, 0x0
	global_atomic_cmpswap_x2 v[0:1], v13, v[0:3], s[26:27] offset:32 glc
	s_waitcnt vmcnt(0)
	v_cmp_eq_u64_e32 vcc_lo, v[0:1], v[2:3]
	v_mov_b32_e32 v3, v1
	v_mov_b32_e32 v2, v0
	s_or_b32 s11, vcc_lo, s11
	s_andn2_b32 exec_lo, exec_lo, s11
	s_cbranch_execnz .LBB5_758
.LBB5_759:
	s_or_b32 exec_lo, exec_lo, s10
	v_mov_b32_e32 v3, 0
	s_mov_b32 s11, exec_lo
	s_mov_b32 s10, exec_lo
	v_mbcnt_lo_u32_b32 v2, s11, 0
	global_load_dwordx2 v[0:1], v3, s[26:27] offset:16
	v_cmpx_eq_u32_e32 0, v2
	s_cbranch_execz .LBB5_761
; %bb.760:
	s_bcnt1_i32_b32 s11, s11
	v_mov_b32_e32 v2, s11
	s_waitcnt vmcnt(0)
	global_atomic_add_x2 v[0:1], v[2:3], off offset:8
.LBB5_761:
	s_or_b32 exec_lo, exec_lo, s10
	s_waitcnt vmcnt(0)
	global_load_dwordx2 v[2:3], v[0:1], off offset:16
	s_waitcnt vmcnt(0)
	v_cmp_eq_u64_e32 vcc_lo, 0, v[2:3]
	s_cbranch_vccnz .LBB5_763
; %bb.762:
	global_load_dword v0, v[0:1], off offset:24
	v_mov_b32_e32 v1, 0
	s_waitcnt vmcnt(0)
	v_and_b32_e32 v7, 0x7fffff, v0
	s_waitcnt_vscnt null, 0x0
	global_store_dwordx2 v[2:3], v[0:1], off
	v_readfirstlane_b32 m0, v7
	s_sendmsg sendmsg(MSG_INTERRUPT)
.LBB5_763:
	s_or_b32 exec_lo, exec_lo, s5
	s_branch .LBB5_767
	.p2align	6
.LBB5_764:                              ;   in Loop: Header=BB5_767 Depth=1
	s_or_b32 exec_lo, exec_lo, s5
	v_readfirstlane_b32 s5, v0
	s_cmp_eq_u32 s5, 0
	s_cbranch_scc1 .LBB5_766
; %bb.765:                              ;   in Loop: Header=BB5_767 Depth=1
	s_sleep 1
	s_cbranch_execnz .LBB5_767
	s_branch .LBB5_769
	.p2align	6
.LBB5_766:
	s_branch .LBB5_769
.LBB5_767:                              ; =>This Inner Loop Header: Depth=1
	v_mov_b32_e32 v0, 1
	s_and_saveexec_b32 s5, s4
	s_cbranch_execz .LBB5_764
; %bb.768:                              ;   in Loop: Header=BB5_767 Depth=1
	global_load_dword v0, v[11:12], off offset:20 glc dlc
	s_waitcnt vmcnt(0)
	buffer_gl1_inv
	buffer_gl0_inv
	v_and_b32_e32 v0, 1, v0
	s_branch .LBB5_764
.LBB5_769:
	global_load_dwordx2 v[7:8], v[9:10], off
	s_and_saveexec_b32 s5, s4
	s_cbranch_execz .LBB5_773
; %bb.770:
	v_mov_b32_e32 v11, 0
	s_clause 0x2
	global_load_dwordx2 v[2:3], v11, s[26:27] offset:40
	global_load_dwordx2 v[12:13], v11, s[26:27] offset:24 glc dlc
	global_load_dwordx2 v[9:10], v11, s[26:27]
	s_waitcnt vmcnt(2)
	v_add_co_u32 v14, vcc_lo, v2, 1
	v_add_co_ci_u32_e32 v15, vcc_lo, 0, v3, vcc_lo
	v_add_co_u32 v0, vcc_lo, v14, s6
	v_add_co_ci_u32_e32 v1, vcc_lo, s7, v15, vcc_lo
	v_cmp_eq_u64_e32 vcc_lo, 0, v[0:1]
	v_cndmask_b32_e32 v1, v1, v15, vcc_lo
	v_cndmask_b32_e32 v0, v0, v14, vcc_lo
	v_and_b32_e32 v3, v1, v3
	v_and_b32_e32 v2, v0, v2
	v_mul_lo_u32 v3, v3, 24
	v_mul_hi_u32 v14, v2, 24
	v_mul_lo_u32 v2, v2, 24
	v_add_nc_u32_e32 v3, v14, v3
	s_waitcnt vmcnt(0)
	v_add_co_u32 v9, vcc_lo, v9, v2
	v_mov_b32_e32 v2, v12
	v_add_co_ci_u32_e32 v10, vcc_lo, v10, v3, vcc_lo
	v_mov_b32_e32 v3, v13
	global_store_dwordx2 v[9:10], v[12:13], off
	s_waitcnt_vscnt null, 0x0
	global_atomic_cmpswap_x2 v[2:3], v11, v[0:3], s[26:27] offset:24 glc
	s_waitcnt vmcnt(0)
	v_cmp_ne_u64_e32 vcc_lo, v[2:3], v[12:13]
	s_and_b32 exec_lo, exec_lo, vcc_lo
	s_cbranch_execz .LBB5_773
; %bb.771:
	s_mov_b32 s4, 0
.LBB5_772:                              ; =>This Inner Loop Header: Depth=1
	s_sleep 1
	global_store_dwordx2 v[9:10], v[2:3], off
	s_waitcnt_vscnt null, 0x0
	global_atomic_cmpswap_x2 v[12:13], v11, v[0:3], s[26:27] offset:24 glc
	s_waitcnt vmcnt(0)
	v_cmp_eq_u64_e32 vcc_lo, v[12:13], v[2:3]
	v_mov_b32_e32 v2, v12
	v_mov_b32_e32 v3, v13
	s_or_b32 s4, vcc_lo, s4
	s_andn2_b32 exec_lo, exec_lo, s4
	s_cbranch_execnz .LBB5_772
.LBB5_773:
	s_or_b32 exec_lo, exec_lo, s5
.LBB5_774:
	v_readfirstlane_b32 s4, v49
	v_mov_b32_e32 v11, 0
	v_mov_b32_e32 v12, 0
	v_cmp_eq_u32_e64 s4, s4, v49
	s_and_saveexec_b32 s5, s4
	s_cbranch_execz .LBB5_780
; %bb.775:
	s_waitcnt vmcnt(0)
	v_mov_b32_e32 v0, 0
	s_mov_b32 s6, exec_lo
	global_load_dwordx2 v[13:14], v0, s[26:27] offset:24 glc dlc
	s_waitcnt vmcnt(0)
	buffer_gl1_inv
	buffer_gl0_inv
	s_clause 0x1
	global_load_dwordx2 v[1:2], v0, s[26:27] offset:40
	global_load_dwordx2 v[9:10], v0, s[26:27]
	s_waitcnt vmcnt(1)
	v_and_b32_e32 v2, v2, v14
	v_and_b32_e32 v1, v1, v13
	v_mul_lo_u32 v2, v2, 24
	v_mul_hi_u32 v3, v1, 24
	v_mul_lo_u32 v1, v1, 24
	v_add_nc_u32_e32 v2, v3, v2
	s_waitcnt vmcnt(0)
	v_add_co_u32 v1, vcc_lo, v9, v1
	v_add_co_ci_u32_e32 v2, vcc_lo, v10, v2, vcc_lo
	global_load_dwordx2 v[11:12], v[1:2], off glc dlc
	s_waitcnt vmcnt(0)
	global_atomic_cmpswap_x2 v[11:12], v0, v[11:14], s[26:27] offset:24 glc
	s_waitcnt vmcnt(0)
	buffer_gl1_inv
	buffer_gl0_inv
	v_cmpx_ne_u64_e64 v[11:12], v[13:14]
	s_cbranch_execz .LBB5_779
; %bb.776:
	s_mov_b32 s7, 0
	.p2align	6
.LBB5_777:                              ; =>This Inner Loop Header: Depth=1
	s_sleep 1
	s_clause 0x1
	global_load_dwordx2 v[1:2], v0, s[26:27] offset:40
	global_load_dwordx2 v[9:10], v0, s[26:27]
	v_mov_b32_e32 v14, v12
	v_mov_b32_e32 v13, v11
	s_waitcnt vmcnt(1)
	v_and_b32_e32 v1, v1, v13
	v_and_b32_e32 v2, v2, v14
	s_waitcnt vmcnt(0)
	v_mad_u64_u32 v[9:10], null, v1, 24, v[9:10]
	v_mov_b32_e32 v1, v10
	v_mad_u64_u32 v[1:2], null, v2, 24, v[1:2]
	v_mov_b32_e32 v10, v1
	global_load_dwordx2 v[11:12], v[9:10], off glc dlc
	s_waitcnt vmcnt(0)
	global_atomic_cmpswap_x2 v[11:12], v0, v[11:14], s[26:27] offset:24 glc
	s_waitcnt vmcnt(0)
	buffer_gl1_inv
	buffer_gl0_inv
	v_cmp_eq_u64_e32 vcc_lo, v[11:12], v[13:14]
	s_or_b32 s7, vcc_lo, s7
	s_andn2_b32 exec_lo, exec_lo, s7
	s_cbranch_execnz .LBB5_777
; %bb.778:
	s_or_b32 exec_lo, exec_lo, s7
.LBB5_779:
	s_or_b32 exec_lo, exec_lo, s6
.LBB5_780:
	s_or_b32 exec_lo, exec_lo, s5
	s_waitcnt vmcnt(0)
	v_mov_b32_e32 v10, 0
	v_readfirstlane_b32 s6, v11
	v_readfirstlane_b32 s7, v12
	s_mov_b32 s5, exec_lo
	s_clause 0x1
	global_load_dwordx2 v[13:14], v10, s[26:27] offset:40
	global_load_dwordx4 v[0:3], v10, s[26:27]
	s_waitcnt vmcnt(1)
	v_readfirstlane_b32 s10, v13
	v_readfirstlane_b32 s11, v14
	s_and_b64 s[10:11], s[6:7], s[10:11]
	s_mul_i32 s16, s11, 24
	s_mul_hi_u32 s17, s10, 24
	s_mul_i32 s18, s10, 24
	s_add_i32 s17, s17, s16
	s_waitcnt vmcnt(0)
	v_add_co_u32 v11, vcc_lo, v0, s18
	v_add_co_ci_u32_e32 v12, vcc_lo, s17, v1, vcc_lo
	s_and_saveexec_b32 s16, s4
	s_cbranch_execz .LBB5_782
; %bb.781:
	v_mov_b32_e32 v9, s5
	v_mov_b32_e32 v14, v10
	;; [unrolled: 1-line block ×5, first 2 shown]
	global_store_dwordx4 v[11:12], v[13:16], off offset:8
.LBB5_782:
	s_or_b32 exec_lo, exec_lo, s16
	s_lshl_b64 s[10:11], s[10:11], 12
	s_mov_b32 s16, 0
	v_add_co_u32 v2, vcc_lo, v2, s10
	v_add_co_ci_u32_e32 v3, vcc_lo, s11, v3, vcc_lo
	s_mov_b32 s17, s16
	s_mov_b32 s18, s16
	;; [unrolled: 1-line block ×3, first 2 shown]
	v_and_or_b32 v7, 0xffffff1d, v7, 34
	v_mov_b32_e32 v9, 58
	v_readfirstlane_b32 s10, v2
	v_readfirstlane_b32 s11, v3
	v_mov_b32_e32 v13, s16
	v_mov_b32_e32 v14, s17
	;; [unrolled: 1-line block ×4, first 2 shown]
	global_store_dwordx4 v48, v[7:10], s[10:11]
	global_store_dwordx4 v48, v[13:16], s[10:11] offset:16
	global_store_dwordx4 v48, v[13:16], s[10:11] offset:32
	;; [unrolled: 1-line block ×3, first 2 shown]
	s_and_saveexec_b32 s5, s4
	s_cbranch_execz .LBB5_790
; %bb.783:
	v_mov_b32_e32 v9, 0
	v_mov_b32_e32 v13, s6
	;; [unrolled: 1-line block ×3, first 2 shown]
	s_clause 0x1
	global_load_dwordx2 v[15:16], v9, s[26:27] offset:32 glc dlc
	global_load_dwordx2 v[2:3], v9, s[26:27] offset:40
	s_waitcnt vmcnt(0)
	v_readfirstlane_b32 s10, v2
	v_readfirstlane_b32 s11, v3
	s_and_b64 s[10:11], s[10:11], s[6:7]
	s_mul_i32 s11, s11, 24
	s_mul_hi_u32 s16, s10, 24
	s_mul_i32 s10, s10, 24
	s_add_i32 s16, s16, s11
	v_add_co_u32 v7, vcc_lo, v0, s10
	v_add_co_ci_u32_e32 v8, vcc_lo, s16, v1, vcc_lo
	s_mov_b32 s10, exec_lo
	global_store_dwordx2 v[7:8], v[15:16], off
	s_waitcnt_vscnt null, 0x0
	global_atomic_cmpswap_x2 v[2:3], v9, v[13:16], s[26:27] offset:32 glc
	s_waitcnt vmcnt(0)
	v_cmpx_ne_u64_e64 v[2:3], v[15:16]
	s_cbranch_execz .LBB5_786
; %bb.784:
	s_mov_b32 s11, 0
.LBB5_785:                              ; =>This Inner Loop Header: Depth=1
	v_mov_b32_e32 v0, s6
	v_mov_b32_e32 v1, s7
	s_sleep 1
	global_store_dwordx2 v[7:8], v[2:3], off
	s_waitcnt_vscnt null, 0x0
	global_atomic_cmpswap_x2 v[0:1], v9, v[0:3], s[26:27] offset:32 glc
	s_waitcnt vmcnt(0)
	v_cmp_eq_u64_e32 vcc_lo, v[0:1], v[2:3]
	v_mov_b32_e32 v3, v1
	v_mov_b32_e32 v2, v0
	s_or_b32 s11, vcc_lo, s11
	s_andn2_b32 exec_lo, exec_lo, s11
	s_cbranch_execnz .LBB5_785
.LBB5_786:
	s_or_b32 exec_lo, exec_lo, s10
	v_mov_b32_e32 v3, 0
	s_mov_b32 s11, exec_lo
	s_mov_b32 s10, exec_lo
	v_mbcnt_lo_u32_b32 v2, s11, 0
	global_load_dwordx2 v[0:1], v3, s[26:27] offset:16
	v_cmpx_eq_u32_e32 0, v2
	s_cbranch_execz .LBB5_788
; %bb.787:
	s_bcnt1_i32_b32 s11, s11
	v_mov_b32_e32 v2, s11
	s_waitcnt vmcnt(0)
	global_atomic_add_x2 v[0:1], v[2:3], off offset:8
.LBB5_788:
	s_or_b32 exec_lo, exec_lo, s10
	s_waitcnt vmcnt(0)
	global_load_dwordx2 v[2:3], v[0:1], off offset:16
	s_waitcnt vmcnt(0)
	v_cmp_eq_u64_e32 vcc_lo, 0, v[2:3]
	s_cbranch_vccnz .LBB5_790
; %bb.789:
	global_load_dword v0, v[0:1], off offset:24
	v_mov_b32_e32 v1, 0
	s_waitcnt vmcnt(0)
	v_and_b32_e32 v7, 0x7fffff, v0
	s_waitcnt_vscnt null, 0x0
	global_store_dwordx2 v[2:3], v[0:1], off
	v_readfirstlane_b32 m0, v7
	s_sendmsg sendmsg(MSG_INTERRUPT)
.LBB5_790:
	s_or_b32 exec_lo, exec_lo, s5
	s_branch .LBB5_794
	.p2align	6
.LBB5_791:                              ;   in Loop: Header=BB5_794 Depth=1
	s_or_b32 exec_lo, exec_lo, s5
	v_readfirstlane_b32 s5, v0
	s_cmp_eq_u32 s5, 0
	s_cbranch_scc1 .LBB5_793
; %bb.792:                              ;   in Loop: Header=BB5_794 Depth=1
	s_sleep 1
	s_cbranch_execnz .LBB5_794
	s_branch .LBB5_796
	.p2align	6
.LBB5_793:
	s_branch .LBB5_796
.LBB5_794:                              ; =>This Inner Loop Header: Depth=1
	v_mov_b32_e32 v0, 1
	s_and_saveexec_b32 s5, s4
	s_cbranch_execz .LBB5_791
; %bb.795:                              ;   in Loop: Header=BB5_794 Depth=1
	global_load_dword v0, v[11:12], off offset:20 glc dlc
	s_waitcnt vmcnt(0)
	buffer_gl1_inv
	buffer_gl0_inv
	v_and_b32_e32 v0, 1, v0
	s_branch .LBB5_791
.LBB5_796:
	s_and_saveexec_b32 s5, s4
	s_cbranch_execz .LBB5_800
; %bb.797:
	v_mov_b32_e32 v9, 0
	s_clause 0x2
	global_load_dwordx2 v[2:3], v9, s[26:27] offset:40
	global_load_dwordx2 v[10:11], v9, s[26:27] offset:24 glc dlc
	global_load_dwordx2 v[7:8], v9, s[26:27]
	s_waitcnt vmcnt(2)
	v_add_co_u32 v12, vcc_lo, v2, 1
	v_add_co_ci_u32_e32 v13, vcc_lo, 0, v3, vcc_lo
	v_add_co_u32 v0, vcc_lo, v12, s6
	v_add_co_ci_u32_e32 v1, vcc_lo, s7, v13, vcc_lo
	v_cmp_eq_u64_e32 vcc_lo, 0, v[0:1]
	v_cndmask_b32_e32 v1, v1, v13, vcc_lo
	v_cndmask_b32_e32 v0, v0, v12, vcc_lo
	v_and_b32_e32 v3, v1, v3
	v_and_b32_e32 v2, v0, v2
	v_mul_lo_u32 v3, v3, 24
	v_mul_hi_u32 v12, v2, 24
	v_mul_lo_u32 v2, v2, 24
	v_add_nc_u32_e32 v3, v12, v3
	s_waitcnt vmcnt(0)
	v_add_co_u32 v7, vcc_lo, v7, v2
	v_mov_b32_e32 v2, v10
	v_add_co_ci_u32_e32 v8, vcc_lo, v8, v3, vcc_lo
	v_mov_b32_e32 v3, v11
	global_store_dwordx2 v[7:8], v[10:11], off
	s_waitcnt_vscnt null, 0x0
	global_atomic_cmpswap_x2 v[2:3], v9, v[0:3], s[26:27] offset:24 glc
	s_waitcnt vmcnt(0)
	v_cmp_ne_u64_e32 vcc_lo, v[2:3], v[10:11]
	s_and_b32 exec_lo, exec_lo, vcc_lo
	s_cbranch_execz .LBB5_800
; %bb.798:
	s_mov_b32 s4, 0
.LBB5_799:                              ; =>This Inner Loop Header: Depth=1
	s_sleep 1
	global_store_dwordx2 v[7:8], v[2:3], off
	s_waitcnt_vscnt null, 0x0
	global_atomic_cmpswap_x2 v[10:11], v9, v[0:3], s[26:27] offset:24 glc
	s_waitcnt vmcnt(0)
	v_cmp_eq_u64_e32 vcc_lo, v[10:11], v[2:3]
	v_mov_b32_e32 v2, v10
	v_mov_b32_e32 v3, v11
	s_or_b32 s4, vcc_lo, s4
	s_andn2_b32 exec_lo, exec_lo, s4
	s_cbranch_execnz .LBB5_799
.LBB5_800:
	s_or_b32 exec_lo, exec_lo, s5
	v_readfirstlane_b32 s4, v49
	v_mov_b32_e32 v9, 0
	v_mov_b32_e32 v10, 0
	v_cmp_eq_u32_e64 s4, s4, v49
	s_and_saveexec_b32 s5, s4
	s_cbranch_execz .LBB5_806
; %bb.801:
	v_mov_b32_e32 v0, 0
	s_mov_b32 s6, exec_lo
	global_load_dwordx2 v[11:12], v0, s[26:27] offset:24 glc dlc
	s_waitcnt vmcnt(0)
	buffer_gl1_inv
	buffer_gl0_inv
	s_clause 0x1
	global_load_dwordx2 v[1:2], v0, s[26:27] offset:40
	global_load_dwordx2 v[7:8], v0, s[26:27]
	s_waitcnt vmcnt(1)
	v_and_b32_e32 v2, v2, v12
	v_and_b32_e32 v1, v1, v11
	v_mul_lo_u32 v2, v2, 24
	v_mul_hi_u32 v3, v1, 24
	v_mul_lo_u32 v1, v1, 24
	v_add_nc_u32_e32 v2, v3, v2
	s_waitcnt vmcnt(0)
	v_add_co_u32 v1, vcc_lo, v7, v1
	v_add_co_ci_u32_e32 v2, vcc_lo, v8, v2, vcc_lo
	global_load_dwordx2 v[9:10], v[1:2], off glc dlc
	s_waitcnt vmcnt(0)
	global_atomic_cmpswap_x2 v[9:10], v0, v[9:12], s[26:27] offset:24 glc
	s_waitcnt vmcnt(0)
	buffer_gl1_inv
	buffer_gl0_inv
	v_cmpx_ne_u64_e64 v[9:10], v[11:12]
	s_cbranch_execz .LBB5_805
; %bb.802:
	s_mov_b32 s7, 0
	.p2align	6
.LBB5_803:                              ; =>This Inner Loop Header: Depth=1
	s_sleep 1
	s_clause 0x1
	global_load_dwordx2 v[1:2], v0, s[26:27] offset:40
	global_load_dwordx2 v[7:8], v0, s[26:27]
	v_mov_b32_e32 v12, v10
	v_mov_b32_e32 v11, v9
	s_waitcnt vmcnt(1)
	v_and_b32_e32 v1, v1, v11
	v_and_b32_e32 v2, v2, v12
	s_waitcnt vmcnt(0)
	v_mad_u64_u32 v[7:8], null, v1, 24, v[7:8]
	v_mov_b32_e32 v1, v8
	v_mad_u64_u32 v[1:2], null, v2, 24, v[1:2]
	v_mov_b32_e32 v8, v1
	global_load_dwordx2 v[9:10], v[7:8], off glc dlc
	s_waitcnt vmcnt(0)
	global_atomic_cmpswap_x2 v[9:10], v0, v[9:12], s[26:27] offset:24 glc
	s_waitcnt vmcnt(0)
	buffer_gl1_inv
	buffer_gl0_inv
	v_cmp_eq_u64_e32 vcc_lo, v[9:10], v[11:12]
	s_or_b32 s7, vcc_lo, s7
	s_andn2_b32 exec_lo, exec_lo, s7
	s_cbranch_execnz .LBB5_803
; %bb.804:
	s_or_b32 exec_lo, exec_lo, s7
.LBB5_805:
	s_or_b32 exec_lo, exec_lo, s6
.LBB5_806:
	s_or_b32 exec_lo, exec_lo, s5
	v_mov_b32_e32 v8, 0
	v_readfirstlane_b32 s6, v9
	v_readfirstlane_b32 s7, v10
	s_mov_b32 s5, exec_lo
	s_clause 0x1
	global_load_dwordx2 v[11:12], v8, s[26:27] offset:40
	global_load_dwordx4 v[0:3], v8, s[26:27]
	s_waitcnt vmcnt(1)
	v_readfirstlane_b32 s10, v11
	v_readfirstlane_b32 s11, v12
	s_and_b64 s[10:11], s[6:7], s[10:11]
	s_mul_i32 s16, s11, 24
	s_mul_hi_u32 s17, s10, 24
	s_mul_i32 s18, s10, 24
	s_add_i32 s17, s17, s16
	s_waitcnt vmcnt(0)
	v_add_co_u32 v11, vcc_lo, v0, s18
	v_add_co_ci_u32_e32 v12, vcc_lo, s17, v1, vcc_lo
	s_and_saveexec_b32 s16, s4
	s_cbranch_execz .LBB5_808
; %bb.807:
	v_mov_b32_e32 v7, s5
	v_mov_b32_e32 v9, 2
	;; [unrolled: 1-line block ×3, first 2 shown]
	global_store_dwordx4 v[11:12], v[7:10], off offset:8
.LBB5_808:
	s_or_b32 exec_lo, exec_lo, s16
	s_lshl_b64 s[10:11], s[10:11], 12
	s_mov_b32 s16, 0
	v_add_co_u32 v2, vcc_lo, v2, s10
	v_add_co_ci_u32_e32 v3, vcc_lo, s11, v3, vcc_lo
	s_mov_b32 s17, s16
	v_add_co_u32 v13, vcc_lo, v2, v48
	s_mov_b32 s18, s16
	s_mov_b32 s19, s16
	v_mov_b32_e32 v7, 33
	v_mov_b32_e32 v9, v8
	;; [unrolled: 1-line block ×3, first 2 shown]
	v_readfirstlane_b32 s10, v2
	v_readfirstlane_b32 s11, v3
	v_mov_b32_e32 v15, s16
	v_add_co_ci_u32_e32 v14, vcc_lo, 0, v3, vcc_lo
	v_mov_b32_e32 v16, s17
	v_mov_b32_e32 v17, s18
	;; [unrolled: 1-line block ×3, first 2 shown]
	global_store_dwordx4 v48, v[7:10], s[10:11]
	global_store_dwordx4 v48, v[15:18], s[10:11] offset:16
	global_store_dwordx4 v48, v[15:18], s[10:11] offset:32
	;; [unrolled: 1-line block ×3, first 2 shown]
	s_and_saveexec_b32 s5, s4
	s_cbranch_execz .LBB5_816
; %bb.809:
	v_mov_b32_e32 v9, 0
	v_mov_b32_e32 v15, s6
	;; [unrolled: 1-line block ×3, first 2 shown]
	s_clause 0x1
	global_load_dwordx2 v[17:18], v9, s[26:27] offset:32 glc dlc
	global_load_dwordx2 v[2:3], v9, s[26:27] offset:40
	s_waitcnt vmcnt(0)
	v_readfirstlane_b32 s10, v2
	v_readfirstlane_b32 s11, v3
	s_and_b64 s[10:11], s[10:11], s[6:7]
	s_mul_i32 s11, s11, 24
	s_mul_hi_u32 s16, s10, 24
	s_mul_i32 s10, s10, 24
	s_add_i32 s16, s16, s11
	v_add_co_u32 v7, vcc_lo, v0, s10
	v_add_co_ci_u32_e32 v8, vcc_lo, s16, v1, vcc_lo
	s_mov_b32 s10, exec_lo
	global_store_dwordx2 v[7:8], v[17:18], off
	s_waitcnt_vscnt null, 0x0
	global_atomic_cmpswap_x2 v[2:3], v9, v[15:18], s[26:27] offset:32 glc
	s_waitcnt vmcnt(0)
	v_cmpx_ne_u64_e64 v[2:3], v[17:18]
	s_cbranch_execz .LBB5_812
; %bb.810:
	s_mov_b32 s11, 0
.LBB5_811:                              ; =>This Inner Loop Header: Depth=1
	v_mov_b32_e32 v0, s6
	v_mov_b32_e32 v1, s7
	s_sleep 1
	global_store_dwordx2 v[7:8], v[2:3], off
	s_waitcnt_vscnt null, 0x0
	global_atomic_cmpswap_x2 v[0:1], v9, v[0:3], s[26:27] offset:32 glc
	s_waitcnt vmcnt(0)
	v_cmp_eq_u64_e32 vcc_lo, v[0:1], v[2:3]
	v_mov_b32_e32 v3, v1
	v_mov_b32_e32 v2, v0
	s_or_b32 s11, vcc_lo, s11
	s_andn2_b32 exec_lo, exec_lo, s11
	s_cbranch_execnz .LBB5_811
.LBB5_812:
	s_or_b32 exec_lo, exec_lo, s10
	v_mov_b32_e32 v3, 0
	s_mov_b32 s11, exec_lo
	s_mov_b32 s10, exec_lo
	v_mbcnt_lo_u32_b32 v2, s11, 0
	global_load_dwordx2 v[0:1], v3, s[26:27] offset:16
	v_cmpx_eq_u32_e32 0, v2
	s_cbranch_execz .LBB5_814
; %bb.813:
	s_bcnt1_i32_b32 s11, s11
	v_mov_b32_e32 v2, s11
	s_waitcnt vmcnt(0)
	global_atomic_add_x2 v[0:1], v[2:3], off offset:8
.LBB5_814:
	s_or_b32 exec_lo, exec_lo, s10
	s_waitcnt vmcnt(0)
	global_load_dwordx2 v[2:3], v[0:1], off offset:16
	s_waitcnt vmcnt(0)
	v_cmp_eq_u64_e32 vcc_lo, 0, v[2:3]
	s_cbranch_vccnz .LBB5_816
; %bb.815:
	global_load_dword v0, v[0:1], off offset:24
	v_mov_b32_e32 v1, 0
	s_waitcnt vmcnt(0)
	v_and_b32_e32 v7, 0x7fffff, v0
	s_waitcnt_vscnt null, 0x0
	global_store_dwordx2 v[2:3], v[0:1], off
	v_readfirstlane_b32 m0, v7
	s_sendmsg sendmsg(MSG_INTERRUPT)
.LBB5_816:
	s_or_b32 exec_lo, exec_lo, s5
	s_branch .LBB5_820
	.p2align	6
.LBB5_817:                              ;   in Loop: Header=BB5_820 Depth=1
	s_or_b32 exec_lo, exec_lo, s5
	v_readfirstlane_b32 s5, v0
	s_cmp_eq_u32 s5, 0
	s_cbranch_scc1 .LBB5_819
; %bb.818:                              ;   in Loop: Header=BB5_820 Depth=1
	s_sleep 1
	s_cbranch_execnz .LBB5_820
	s_branch .LBB5_822
	.p2align	6
.LBB5_819:
	s_branch .LBB5_822
.LBB5_820:                              ; =>This Inner Loop Header: Depth=1
	v_mov_b32_e32 v0, 1
	s_and_saveexec_b32 s5, s4
	s_cbranch_execz .LBB5_817
; %bb.821:                              ;   in Loop: Header=BB5_820 Depth=1
	global_load_dword v0, v[11:12], off offset:20 glc dlc
	s_waitcnt vmcnt(0)
	buffer_gl1_inv
	buffer_gl0_inv
	v_and_b32_e32 v0, 1, v0
	s_branch .LBB5_817
.LBB5_822:
	global_load_dwordx2 v[0:1], v[13:14], off
	s_and_saveexec_b32 s5, s4
	s_cbranch_execz .LBB5_826
; %bb.823:
	v_mov_b32_e32 v11, 0
	s_clause 0x2
	global_load_dwordx2 v[2:3], v11, s[26:27] offset:40
	global_load_dwordx2 v[12:13], v11, s[26:27] offset:24 glc dlc
	global_load_dwordx2 v[9:10], v11, s[26:27]
	s_waitcnt vmcnt(2)
	v_add_co_u32 v14, vcc_lo, v2, 1
	v_add_co_ci_u32_e32 v15, vcc_lo, 0, v3, vcc_lo
	v_add_co_u32 v7, vcc_lo, v14, s6
	v_add_co_ci_u32_e32 v8, vcc_lo, s7, v15, vcc_lo
	v_cmp_eq_u64_e32 vcc_lo, 0, v[7:8]
	v_cndmask_b32_e32 v8, v8, v15, vcc_lo
	v_cndmask_b32_e32 v7, v7, v14, vcc_lo
	v_and_b32_e32 v3, v8, v3
	v_and_b32_e32 v2, v7, v2
	v_mul_lo_u32 v3, v3, 24
	v_mul_hi_u32 v14, v2, 24
	v_mul_lo_u32 v2, v2, 24
	v_add_nc_u32_e32 v3, v14, v3
	s_waitcnt vmcnt(0)
	v_add_co_u32 v2, vcc_lo, v9, v2
	v_mov_b32_e32 v9, v12
	v_add_co_ci_u32_e32 v3, vcc_lo, v10, v3, vcc_lo
	v_mov_b32_e32 v10, v13
	global_store_dwordx2 v[2:3], v[12:13], off
	s_waitcnt_vscnt null, 0x0
	global_atomic_cmpswap_x2 v[9:10], v11, v[7:10], s[26:27] offset:24 glc
	s_waitcnt vmcnt(0)
	v_cmp_ne_u64_e32 vcc_lo, v[9:10], v[12:13]
	s_and_b32 exec_lo, exec_lo, vcc_lo
	s_cbranch_execz .LBB5_826
; %bb.824:
	s_mov_b32 s4, 0
.LBB5_825:                              ; =>This Inner Loop Header: Depth=1
	s_sleep 1
	global_store_dwordx2 v[2:3], v[9:10], off
	s_waitcnt_vscnt null, 0x0
	global_atomic_cmpswap_x2 v[12:13], v11, v[7:10], s[26:27] offset:24 glc
	s_waitcnt vmcnt(0)
	v_cmp_eq_u64_e32 vcc_lo, v[12:13], v[9:10]
	v_mov_b32_e32 v9, v12
	v_mov_b32_e32 v10, v13
	s_or_b32 s4, vcc_lo, s4
	s_andn2_b32 exec_lo, exec_lo, s4
	s_cbranch_execnz .LBB5_825
.LBB5_826:
	s_or_b32 exec_lo, exec_lo, s5
	s_getpc_b64 s[6:7]
	s_add_u32 s6, s6, .str.10@rel32@lo+4
	s_addc_u32 s7, s7, .str.10@rel32@hi+12
	s_cmp_lg_u64 s[6:7], 0
	s_cbranch_scc0 .LBB5_905
; %bb.827:
	s_waitcnt vmcnt(0)
	v_and_b32_e32 v34, 2, v0
	v_mov_b32_e32 v11, 0
	v_and_b32_e32 v7, -3, v0
	v_mov_b32_e32 v8, v1
	v_mov_b32_e32 v12, 2
	;; [unrolled: 1-line block ×3, first 2 shown]
	s_mov_b64 s[10:11], 4
	s_branch .LBB5_829
.LBB5_828:                              ;   in Loop: Header=BB5_829 Depth=1
	s_or_b32 exec_lo, exec_lo, s5
	s_sub_u32 s10, s10, s16
	s_subb_u32 s11, s11, s17
	s_add_u32 s6, s6, s16
	s_addc_u32 s7, s7, s17
	s_cmp_lg_u64 s[10:11], 0
	s_cbranch_scc0 .LBB5_904
.LBB5_829:                              ; =>This Loop Header: Depth=1
                                        ;     Child Loop BB5_838 Depth 2
                                        ;     Child Loop BB5_834 Depth 2
	;; [unrolled: 1-line block ×11, first 2 shown]
	v_cmp_lt_u64_e64 s4, s[10:11], 56
	v_cmp_gt_u64_e64 s5, s[10:11], 7
                                        ; implicit-def: $vgpr16_vgpr17
                                        ; implicit-def: $sgpr22
	s_and_b32 s4, s4, exec_lo
	s_cselect_b32 s17, s11, 0
	s_cselect_b32 s16, s10, 56
	s_and_b32 vcc_lo, exec_lo, s5
	s_mov_b32 s4, -1
	s_cbranch_vccz .LBB5_836
; %bb.830:                              ;   in Loop: Header=BB5_829 Depth=1
	s_andn2_b32 vcc_lo, exec_lo, s4
	s_mov_b64 s[4:5], s[6:7]
	s_cbranch_vccz .LBB5_840
.LBB5_831:                              ;   in Loop: Header=BB5_829 Depth=1
	s_cmp_gt_u32 s22, 7
	s_cbranch_scc1 .LBB5_841
.LBB5_832:                              ;   in Loop: Header=BB5_829 Depth=1
	v_mov_b32_e32 v18, 0
	v_mov_b32_e32 v19, 0
	s_cmp_eq_u32 s22, 0
	s_cbranch_scc1 .LBB5_835
; %bb.833:                              ;   in Loop: Header=BB5_829 Depth=1
	s_mov_b64 s[18:19], 0
	s_mov_b64 s[20:21], 0
.LBB5_834:                              ;   Parent Loop BB5_829 Depth=1
                                        ; =>  This Inner Loop Header: Depth=2
	s_add_u32 s24, s4, s20
	s_addc_u32 s25, s5, s21
	s_add_u32 s20, s20, 1
	global_load_ubyte v2, v11, s[24:25]
	s_addc_u32 s21, s21, 0
	s_waitcnt vmcnt(0)
	v_and_b32_e32 v10, 0xffff, v2
	v_lshlrev_b64 v[2:3], s18, v[10:11]
	s_add_u32 s18, s18, 8
	s_addc_u32 s19, s19, 0
	s_cmp_lg_u32 s22, s20
	v_or_b32_e32 v18, v2, v18
	v_or_b32_e32 v19, v3, v19
	s_cbranch_scc1 .LBB5_834
.LBB5_835:                              ;   in Loop: Header=BB5_829 Depth=1
	s_mov_b32 s23, 0
	s_cbranch_execz .LBB5_842
	s_branch .LBB5_843
.LBB5_836:                              ;   in Loop: Header=BB5_829 Depth=1
	v_mov_b32_e32 v16, 0
	v_mov_b32_e32 v17, 0
	s_cmp_eq_u64 s[10:11], 0
	s_mov_b64 s[4:5], 0
	s_cbranch_scc1 .LBB5_839
; %bb.837:                              ;   in Loop: Header=BB5_829 Depth=1
	v_mov_b32_e32 v16, 0
	v_mov_b32_e32 v17, 0
	s_lshl_b64 s[18:19], s[16:17], 3
	s_mov_b64 s[20:21], s[6:7]
.LBB5_838:                              ;   Parent Loop BB5_829 Depth=1
                                        ; =>  This Inner Loop Header: Depth=2
	global_load_ubyte v2, v11, s[20:21]
	s_waitcnt vmcnt(0)
	v_and_b32_e32 v10, 0xffff, v2
	v_lshlrev_b64 v[2:3], s4, v[10:11]
	s_add_u32 s4, s4, 8
	s_addc_u32 s5, s5, 0
	s_add_u32 s20, s20, 1
	s_addc_u32 s21, s21, 0
	s_cmp_lg_u32 s18, s4
	v_or_b32_e32 v16, v2, v16
	v_or_b32_e32 v17, v3, v17
	s_cbranch_scc1 .LBB5_838
.LBB5_839:                              ;   in Loop: Header=BB5_829 Depth=1
	s_mov_b32 s22, 0
	s_mov_b64 s[4:5], s[6:7]
	s_cbranch_execnz .LBB5_831
.LBB5_840:                              ;   in Loop: Header=BB5_829 Depth=1
	global_load_dwordx2 v[16:17], v11, s[6:7]
	s_add_i32 s22, s16, -8
	s_add_u32 s4, s6, 8
	s_addc_u32 s5, s7, 0
	s_cmp_gt_u32 s22, 7
	s_cbranch_scc0 .LBB5_832
.LBB5_841:                              ;   in Loop: Header=BB5_829 Depth=1
                                        ; implicit-def: $vgpr18_vgpr19
                                        ; implicit-def: $sgpr23
.LBB5_842:                              ;   in Loop: Header=BB5_829 Depth=1
	global_load_dwordx2 v[18:19], v11, s[4:5]
	s_add_i32 s23, s22, -8
	s_add_u32 s4, s4, 8
	s_addc_u32 s5, s5, 0
.LBB5_843:                              ;   in Loop: Header=BB5_829 Depth=1
	s_cmp_gt_u32 s23, 7
	s_cbranch_scc1 .LBB5_848
; %bb.844:                              ;   in Loop: Header=BB5_829 Depth=1
	v_mov_b32_e32 v20, 0
	v_mov_b32_e32 v21, 0
	s_cmp_eq_u32 s23, 0
	s_cbranch_scc1 .LBB5_847
; %bb.845:                              ;   in Loop: Header=BB5_829 Depth=1
	s_mov_b64 s[18:19], 0
	s_mov_b64 s[20:21], 0
.LBB5_846:                              ;   Parent Loop BB5_829 Depth=1
                                        ; =>  This Inner Loop Header: Depth=2
	s_add_u32 s24, s4, s20
	s_addc_u32 s25, s5, s21
	s_add_u32 s20, s20, 1
	global_load_ubyte v2, v11, s[24:25]
	s_addc_u32 s21, s21, 0
	s_waitcnt vmcnt(0)
	v_and_b32_e32 v10, 0xffff, v2
	v_lshlrev_b64 v[2:3], s18, v[10:11]
	s_add_u32 s18, s18, 8
	s_addc_u32 s19, s19, 0
	s_cmp_lg_u32 s23, s20
	v_or_b32_e32 v20, v2, v20
	v_or_b32_e32 v21, v3, v21
	s_cbranch_scc1 .LBB5_846
.LBB5_847:                              ;   in Loop: Header=BB5_829 Depth=1
	s_mov_b32 s22, 0
	s_cbranch_execz .LBB5_849
	s_branch .LBB5_850
.LBB5_848:                              ;   in Loop: Header=BB5_829 Depth=1
                                        ; implicit-def: $sgpr22
.LBB5_849:                              ;   in Loop: Header=BB5_829 Depth=1
	global_load_dwordx2 v[20:21], v11, s[4:5]
	s_add_i32 s22, s23, -8
	s_add_u32 s4, s4, 8
	s_addc_u32 s5, s5, 0
.LBB5_850:                              ;   in Loop: Header=BB5_829 Depth=1
	s_cmp_gt_u32 s22, 7
	s_cbranch_scc1 .LBB5_855
; %bb.851:                              ;   in Loop: Header=BB5_829 Depth=1
	v_mov_b32_e32 v22, 0
	v_mov_b32_e32 v23, 0
	s_cmp_eq_u32 s22, 0
	s_cbranch_scc1 .LBB5_854
; %bb.852:                              ;   in Loop: Header=BB5_829 Depth=1
	s_mov_b64 s[18:19], 0
	s_mov_b64 s[20:21], 0
.LBB5_853:                              ;   Parent Loop BB5_829 Depth=1
                                        ; =>  This Inner Loop Header: Depth=2
	s_add_u32 s24, s4, s20
	s_addc_u32 s25, s5, s21
	s_add_u32 s20, s20, 1
	global_load_ubyte v2, v11, s[24:25]
	s_addc_u32 s21, s21, 0
	s_waitcnt vmcnt(0)
	v_and_b32_e32 v10, 0xffff, v2
	v_lshlrev_b64 v[2:3], s18, v[10:11]
	s_add_u32 s18, s18, 8
	s_addc_u32 s19, s19, 0
	s_cmp_lg_u32 s22, s20
	v_or_b32_e32 v22, v2, v22
	v_or_b32_e32 v23, v3, v23
	s_cbranch_scc1 .LBB5_853
.LBB5_854:                              ;   in Loop: Header=BB5_829 Depth=1
	s_mov_b32 s23, 0
	s_cbranch_execz .LBB5_856
	s_branch .LBB5_857
.LBB5_855:                              ;   in Loop: Header=BB5_829 Depth=1
                                        ; implicit-def: $vgpr22_vgpr23
                                        ; implicit-def: $sgpr23
.LBB5_856:                              ;   in Loop: Header=BB5_829 Depth=1
	global_load_dwordx2 v[22:23], v11, s[4:5]
	s_add_i32 s23, s22, -8
	s_add_u32 s4, s4, 8
	s_addc_u32 s5, s5, 0
.LBB5_857:                              ;   in Loop: Header=BB5_829 Depth=1
	s_cmp_gt_u32 s23, 7
	s_cbranch_scc1 .LBB5_862
; %bb.858:                              ;   in Loop: Header=BB5_829 Depth=1
	v_mov_b32_e32 v24, 0
	v_mov_b32_e32 v25, 0
	s_cmp_eq_u32 s23, 0
	s_cbranch_scc1 .LBB5_861
; %bb.859:                              ;   in Loop: Header=BB5_829 Depth=1
	s_mov_b64 s[18:19], 0
	s_mov_b64 s[20:21], 0
.LBB5_860:                              ;   Parent Loop BB5_829 Depth=1
                                        ; =>  This Inner Loop Header: Depth=2
	s_add_u32 s24, s4, s20
	s_addc_u32 s25, s5, s21
	s_add_u32 s20, s20, 1
	global_load_ubyte v2, v11, s[24:25]
	s_addc_u32 s21, s21, 0
	s_waitcnt vmcnt(0)
	v_and_b32_e32 v10, 0xffff, v2
	v_lshlrev_b64 v[2:3], s18, v[10:11]
	s_add_u32 s18, s18, 8
	s_addc_u32 s19, s19, 0
	s_cmp_lg_u32 s23, s20
	v_or_b32_e32 v24, v2, v24
	v_or_b32_e32 v25, v3, v25
	s_cbranch_scc1 .LBB5_860
.LBB5_861:                              ;   in Loop: Header=BB5_829 Depth=1
	s_mov_b32 s22, 0
	s_cbranch_execz .LBB5_863
	s_branch .LBB5_864
.LBB5_862:                              ;   in Loop: Header=BB5_829 Depth=1
                                        ; implicit-def: $sgpr22
.LBB5_863:                              ;   in Loop: Header=BB5_829 Depth=1
	global_load_dwordx2 v[24:25], v11, s[4:5]
	s_add_i32 s22, s23, -8
	s_add_u32 s4, s4, 8
	s_addc_u32 s5, s5, 0
.LBB5_864:                              ;   in Loop: Header=BB5_829 Depth=1
	s_cmp_gt_u32 s22, 7
	s_cbranch_scc1 .LBB5_869
; %bb.865:                              ;   in Loop: Header=BB5_829 Depth=1
	v_mov_b32_e32 v26, 0
	v_mov_b32_e32 v27, 0
	s_cmp_eq_u32 s22, 0
	s_cbranch_scc1 .LBB5_868
; %bb.866:                              ;   in Loop: Header=BB5_829 Depth=1
	s_mov_b64 s[18:19], 0
	s_mov_b64 s[20:21], 0
.LBB5_867:                              ;   Parent Loop BB5_829 Depth=1
                                        ; =>  This Inner Loop Header: Depth=2
	s_add_u32 s24, s4, s20
	s_addc_u32 s25, s5, s21
	s_add_u32 s20, s20, 1
	global_load_ubyte v2, v11, s[24:25]
	s_addc_u32 s21, s21, 0
	s_waitcnt vmcnt(0)
	v_and_b32_e32 v10, 0xffff, v2
	v_lshlrev_b64 v[2:3], s18, v[10:11]
	s_add_u32 s18, s18, 8
	s_addc_u32 s19, s19, 0
	s_cmp_lg_u32 s22, s20
	v_or_b32_e32 v26, v2, v26
	v_or_b32_e32 v27, v3, v27
	s_cbranch_scc1 .LBB5_867
.LBB5_868:                              ;   in Loop: Header=BB5_829 Depth=1
	s_mov_b32 s23, 0
	s_cbranch_execz .LBB5_870
	s_branch .LBB5_871
.LBB5_869:                              ;   in Loop: Header=BB5_829 Depth=1
                                        ; implicit-def: $vgpr26_vgpr27
                                        ; implicit-def: $sgpr23
.LBB5_870:                              ;   in Loop: Header=BB5_829 Depth=1
	global_load_dwordx2 v[26:27], v11, s[4:5]
	s_add_i32 s23, s22, -8
	s_add_u32 s4, s4, 8
	s_addc_u32 s5, s5, 0
.LBB5_871:                              ;   in Loop: Header=BB5_829 Depth=1
	s_cmp_gt_u32 s23, 7
	s_cbranch_scc1 .LBB5_876
; %bb.872:                              ;   in Loop: Header=BB5_829 Depth=1
	v_mov_b32_e32 v28, 0
	v_mov_b32_e32 v29, 0
	s_cmp_eq_u32 s23, 0
	s_cbranch_scc1 .LBB5_875
; %bb.873:                              ;   in Loop: Header=BB5_829 Depth=1
	s_mov_b64 s[18:19], 0
	s_mov_b64 s[20:21], s[4:5]
.LBB5_874:                              ;   Parent Loop BB5_829 Depth=1
                                        ; =>  This Inner Loop Header: Depth=2
	global_load_ubyte v2, v11, s[20:21]
	s_add_i32 s23, s23, -1
	s_waitcnt vmcnt(0)
	v_and_b32_e32 v10, 0xffff, v2
	v_lshlrev_b64 v[2:3], s18, v[10:11]
	s_add_u32 s18, s18, 8
	s_addc_u32 s19, s19, 0
	s_add_u32 s20, s20, 1
	s_addc_u32 s21, s21, 0
	s_cmp_lg_u32 s23, 0
	v_or_b32_e32 v28, v2, v28
	v_or_b32_e32 v29, v3, v29
	s_cbranch_scc1 .LBB5_874
.LBB5_875:                              ;   in Loop: Header=BB5_829 Depth=1
	s_cbranch_execz .LBB5_877
	s_branch .LBB5_878
.LBB5_876:                              ;   in Loop: Header=BB5_829 Depth=1
.LBB5_877:                              ;   in Loop: Header=BB5_829 Depth=1
	global_load_dwordx2 v[28:29], v11, s[4:5]
.LBB5_878:                              ;   in Loop: Header=BB5_829 Depth=1
	v_readfirstlane_b32 s4, v49
	v_mov_b32_e32 v2, 0
	v_mov_b32_e32 v3, 0
	v_cmp_eq_u32_e64 s4, s4, v49
	s_and_saveexec_b32 s5, s4
	s_cbranch_execz .LBB5_884
; %bb.879:                              ;   in Loop: Header=BB5_829 Depth=1
	global_load_dwordx2 v[32:33], v11, s[26:27] offset:24 glc dlc
	s_waitcnt vmcnt(0)
	buffer_gl1_inv
	buffer_gl0_inv
	s_clause 0x1
	global_load_dwordx2 v[2:3], v11, s[26:27] offset:40
	global_load_dwordx2 v[9:10], v11, s[26:27]
	s_mov_b32 s18, exec_lo
	s_waitcnt vmcnt(1)
	v_and_b32_e32 v3, v3, v33
	v_and_b32_e32 v2, v2, v32
	v_mul_lo_u32 v3, v3, 24
	v_mul_hi_u32 v14, v2, 24
	v_mul_lo_u32 v2, v2, 24
	v_add_nc_u32_e32 v3, v14, v3
	s_waitcnt vmcnt(0)
	v_add_co_u32 v2, vcc_lo, v9, v2
	v_add_co_ci_u32_e32 v3, vcc_lo, v10, v3, vcc_lo
	global_load_dwordx2 v[30:31], v[2:3], off glc dlc
	s_waitcnt vmcnt(0)
	global_atomic_cmpswap_x2 v[2:3], v11, v[30:33], s[26:27] offset:24 glc
	s_waitcnt vmcnt(0)
	buffer_gl1_inv
	buffer_gl0_inv
	v_cmpx_ne_u64_e64 v[2:3], v[32:33]
	s_cbranch_execz .LBB5_883
; %bb.880:                              ;   in Loop: Header=BB5_829 Depth=1
	s_mov_b32 s19, 0
	.p2align	6
.LBB5_881:                              ;   Parent Loop BB5_829 Depth=1
                                        ; =>  This Inner Loop Header: Depth=2
	s_sleep 1
	s_clause 0x1
	global_load_dwordx2 v[9:10], v11, s[26:27] offset:40
	global_load_dwordx2 v[14:15], v11, s[26:27]
	v_mov_b32_e32 v33, v3
	v_mov_b32_e32 v32, v2
	s_waitcnt vmcnt(1)
	v_and_b32_e32 v2, v9, v32
	v_and_b32_e32 v9, v10, v33
	s_waitcnt vmcnt(0)
	v_mad_u64_u32 v[2:3], null, v2, 24, v[14:15]
	v_mad_u64_u32 v[9:10], null, v9, 24, v[3:4]
	v_mov_b32_e32 v3, v9
	global_load_dwordx2 v[30:31], v[2:3], off glc dlc
	s_waitcnt vmcnt(0)
	global_atomic_cmpswap_x2 v[2:3], v11, v[30:33], s[26:27] offset:24 glc
	s_waitcnt vmcnt(0)
	buffer_gl1_inv
	buffer_gl0_inv
	v_cmp_eq_u64_e32 vcc_lo, v[2:3], v[32:33]
	s_or_b32 s19, vcc_lo, s19
	s_andn2_b32 exec_lo, exec_lo, s19
	s_cbranch_execnz .LBB5_881
; %bb.882:                              ;   in Loop: Header=BB5_829 Depth=1
	s_or_b32 exec_lo, exec_lo, s19
.LBB5_883:                              ;   in Loop: Header=BB5_829 Depth=1
	s_or_b32 exec_lo, exec_lo, s18
.LBB5_884:                              ;   in Loop: Header=BB5_829 Depth=1
	s_or_b32 exec_lo, exec_lo, s5
	s_clause 0x1
	global_load_dwordx2 v[9:10], v11, s[26:27] offset:40
	global_load_dwordx4 v[30:33], v11, s[26:27]
	v_readfirstlane_b32 s18, v2
	v_readfirstlane_b32 s19, v3
	s_mov_b32 s5, exec_lo
	s_waitcnt vmcnt(1)
	v_readfirstlane_b32 s20, v9
	v_readfirstlane_b32 s21, v10
	s_and_b64 s[20:21], s[18:19], s[20:21]
	s_mul_i32 s22, s21, 24
	s_mul_hi_u32 s23, s20, 24
	s_mul_i32 s24, s20, 24
	s_add_i32 s23, s23, s22
	s_waitcnt vmcnt(0)
	v_add_co_u32 v2, vcc_lo, v30, s24
	v_add_co_ci_u32_e32 v3, vcc_lo, s23, v31, vcc_lo
	s_and_saveexec_b32 s22, s4
	s_cbranch_execz .LBB5_886
; %bb.885:                              ;   in Loop: Header=BB5_829 Depth=1
	v_mov_b32_e32 v10, s5
	global_store_dwordx4 v[2:3], v[10:13], off offset:8
.LBB5_886:                              ;   in Loop: Header=BB5_829 Depth=1
	s_or_b32 exec_lo, exec_lo, s22
	s_lshl_b64 s[20:21], s[20:21], 12
	v_cmp_gt_u64_e64 vcc_lo, s[10:11], 56
	v_or_b32_e32 v10, v7, v34
	v_add_co_u32 v32, s5, v32, s20
	v_add_co_ci_u32_e64 v33, s5, s21, v33, s5
	s_lshl_b32 s5, s16, 2
	v_or_b32_e32 v9, 0, v8
	v_cndmask_b32_e32 v7, v10, v7, vcc_lo
	s_add_i32 s5, s5, 28
	v_readfirstlane_b32 s20, v32
	s_and_b32 s5, s5, 0x1e0
	v_cndmask_b32_e32 v15, v9, v8, vcc_lo
	v_readfirstlane_b32 s21, v33
	v_and_or_b32 v14, 0xffffff1f, v7, s5
	global_store_dwordx4 v48, v[14:17], s[20:21]
	global_store_dwordx4 v48, v[18:21], s[20:21] offset:16
	global_store_dwordx4 v48, v[22:25], s[20:21] offset:32
	;; [unrolled: 1-line block ×3, first 2 shown]
	s_and_saveexec_b32 s5, s4
	s_cbranch_execz .LBB5_894
; %bb.887:                              ;   in Loop: Header=BB5_829 Depth=1
	s_clause 0x1
	global_load_dwordx2 v[18:19], v11, s[26:27] offset:32 glc dlc
	global_load_dwordx2 v[7:8], v11, s[26:27] offset:40
	v_mov_b32_e32 v16, s18
	v_mov_b32_e32 v17, s19
	s_waitcnt vmcnt(0)
	v_readfirstlane_b32 s20, v7
	v_readfirstlane_b32 s21, v8
	s_and_b64 s[20:21], s[20:21], s[18:19]
	s_mul_i32 s21, s21, 24
	s_mul_hi_u32 s22, s20, 24
	s_mul_i32 s20, s20, 24
	s_add_i32 s22, s22, s21
	v_add_co_u32 v14, vcc_lo, v30, s20
	v_add_co_ci_u32_e32 v15, vcc_lo, s22, v31, vcc_lo
	s_mov_b32 s20, exec_lo
	global_store_dwordx2 v[14:15], v[18:19], off
	s_waitcnt_vscnt null, 0x0
	global_atomic_cmpswap_x2 v[9:10], v11, v[16:19], s[26:27] offset:32 glc
	s_waitcnt vmcnt(0)
	v_cmpx_ne_u64_e64 v[9:10], v[18:19]
	s_cbranch_execz .LBB5_890
; %bb.888:                              ;   in Loop: Header=BB5_829 Depth=1
	s_mov_b32 s21, 0
.LBB5_889:                              ;   Parent Loop BB5_829 Depth=1
                                        ; =>  This Inner Loop Header: Depth=2
	v_mov_b32_e32 v7, s18
	v_mov_b32_e32 v8, s19
	s_sleep 1
	global_store_dwordx2 v[14:15], v[9:10], off
	s_waitcnt_vscnt null, 0x0
	global_atomic_cmpswap_x2 v[7:8], v11, v[7:10], s[26:27] offset:32 glc
	s_waitcnt vmcnt(0)
	v_cmp_eq_u64_e32 vcc_lo, v[7:8], v[9:10]
	v_mov_b32_e32 v10, v8
	v_mov_b32_e32 v9, v7
	s_or_b32 s21, vcc_lo, s21
	s_andn2_b32 exec_lo, exec_lo, s21
	s_cbranch_execnz .LBB5_889
.LBB5_890:                              ;   in Loop: Header=BB5_829 Depth=1
	s_or_b32 exec_lo, exec_lo, s20
	global_load_dwordx2 v[7:8], v11, s[26:27] offset:16
	s_mov_b32 s21, exec_lo
	s_mov_b32 s20, exec_lo
	v_mbcnt_lo_u32_b32 v9, s21, 0
	v_cmpx_eq_u32_e32 0, v9
	s_cbranch_execz .LBB5_892
; %bb.891:                              ;   in Loop: Header=BB5_829 Depth=1
	s_bcnt1_i32_b32 s21, s21
	v_mov_b32_e32 v10, s21
	s_waitcnt vmcnt(0)
	global_atomic_add_x2 v[7:8], v[10:11], off offset:8
.LBB5_892:                              ;   in Loop: Header=BB5_829 Depth=1
	s_or_b32 exec_lo, exec_lo, s20
	s_waitcnt vmcnt(0)
	global_load_dwordx2 v[14:15], v[7:8], off offset:16
	s_waitcnt vmcnt(0)
	v_cmp_eq_u64_e32 vcc_lo, 0, v[14:15]
	s_cbranch_vccnz .LBB5_894
; %bb.893:                              ;   in Loop: Header=BB5_829 Depth=1
	global_load_dword v10, v[7:8], off offset:24
	s_waitcnt vmcnt(0)
	v_and_b32_e32 v7, 0x7fffff, v10
	s_waitcnt_vscnt null, 0x0
	global_store_dwordx2 v[14:15], v[10:11], off
	v_readfirstlane_b32 m0, v7
	s_sendmsg sendmsg(MSG_INTERRUPT)
.LBB5_894:                              ;   in Loop: Header=BB5_829 Depth=1
	s_or_b32 exec_lo, exec_lo, s5
	v_add_co_u32 v7, vcc_lo, v32, v48
	v_add_co_ci_u32_e32 v8, vcc_lo, 0, v33, vcc_lo
	s_branch .LBB5_898
	.p2align	6
.LBB5_895:                              ;   in Loop: Header=BB5_898 Depth=2
	s_or_b32 exec_lo, exec_lo, s5
	v_readfirstlane_b32 s5, v9
	s_cmp_eq_u32 s5, 0
	s_cbranch_scc1 .LBB5_897
; %bb.896:                              ;   in Loop: Header=BB5_898 Depth=2
	s_sleep 1
	s_cbranch_execnz .LBB5_898
	s_branch .LBB5_900
	.p2align	6
.LBB5_897:                              ;   in Loop: Header=BB5_829 Depth=1
	s_branch .LBB5_900
.LBB5_898:                              ;   Parent Loop BB5_829 Depth=1
                                        ; =>  This Inner Loop Header: Depth=2
	v_mov_b32_e32 v9, 1
	s_and_saveexec_b32 s5, s4
	s_cbranch_execz .LBB5_895
; %bb.899:                              ;   in Loop: Header=BB5_898 Depth=2
	global_load_dword v9, v[2:3], off offset:20 glc dlc
	s_waitcnt vmcnt(0)
	buffer_gl1_inv
	buffer_gl0_inv
	v_and_b32_e32 v9, 1, v9
	s_branch .LBB5_895
.LBB5_900:                              ;   in Loop: Header=BB5_829 Depth=1
	global_load_dwordx4 v[7:10], v[7:8], off
	s_and_saveexec_b32 s5, s4
	s_cbranch_execz .LBB5_828
; %bb.901:                              ;   in Loop: Header=BB5_829 Depth=1
	s_clause 0x2
	global_load_dwordx2 v[2:3], v11, s[26:27] offset:40
	global_load_dwordx2 v[9:10], v11, s[26:27] offset:24 glc dlc
	global_load_dwordx2 v[16:17], v11, s[26:27]
	s_waitcnt vmcnt(2)
	v_add_co_u32 v18, vcc_lo, v2, 1
	v_add_co_ci_u32_e32 v19, vcc_lo, 0, v3, vcc_lo
	v_add_co_u32 v14, vcc_lo, v18, s18
	v_add_co_ci_u32_e32 v15, vcc_lo, s19, v19, vcc_lo
	v_cmp_eq_u64_e32 vcc_lo, 0, v[14:15]
	v_cndmask_b32_e32 v15, v15, v19, vcc_lo
	v_cndmask_b32_e32 v14, v14, v18, vcc_lo
	v_and_b32_e32 v3, v15, v3
	v_and_b32_e32 v2, v14, v2
	v_mul_lo_u32 v3, v3, 24
	v_mul_hi_u32 v18, v2, 24
	v_mul_lo_u32 v2, v2, 24
	v_add_nc_u32_e32 v3, v18, v3
	s_waitcnt vmcnt(0)
	v_add_co_u32 v2, vcc_lo, v16, v2
	v_mov_b32_e32 v16, v9
	v_add_co_ci_u32_e32 v3, vcc_lo, v17, v3, vcc_lo
	v_mov_b32_e32 v17, v10
	global_store_dwordx2 v[2:3], v[9:10], off
	s_waitcnt_vscnt null, 0x0
	global_atomic_cmpswap_x2 v[16:17], v11, v[14:17], s[26:27] offset:24 glc
	s_waitcnt vmcnt(0)
	v_cmp_ne_u64_e32 vcc_lo, v[16:17], v[9:10]
	s_and_b32 exec_lo, exec_lo, vcc_lo
	s_cbranch_execz .LBB5_828
; %bb.902:                              ;   in Loop: Header=BB5_829 Depth=1
	s_mov_b32 s4, 0
.LBB5_903:                              ;   Parent Loop BB5_829 Depth=1
                                        ; =>  This Inner Loop Header: Depth=2
	s_sleep 1
	global_store_dwordx2 v[2:3], v[16:17], off
	s_waitcnt_vscnt null, 0x0
	global_atomic_cmpswap_x2 v[9:10], v11, v[14:17], s[26:27] offset:24 glc
	s_waitcnt vmcnt(0)
	v_cmp_eq_u64_e32 vcc_lo, v[9:10], v[16:17]
	v_mov_b32_e32 v17, v10
	v_mov_b32_e32 v16, v9
	s_or_b32 s4, vcc_lo, s4
	s_andn2_b32 exec_lo, exec_lo, s4
	s_cbranch_execnz .LBB5_903
	s_branch .LBB5_828
.LBB5_904:
	s_branch .LBB5_933
.LBB5_905:
                                        ; implicit-def: $vgpr7_vgpr8
	s_cbranch_execz .LBB5_933
; %bb.906:
	v_readfirstlane_b32 s4, v49
	v_mov_b32_e32 v11, 0
	v_mov_b32_e32 v12, 0
	v_cmp_eq_u32_e64 s4, s4, v49
	s_and_saveexec_b32 s5, s4
	s_cbranch_execz .LBB5_912
; %bb.907:
	v_mov_b32_e32 v2, 0
	s_mov_b32 s6, exec_lo
	global_load_dwordx2 v[9:10], v2, s[26:27] offset:24 glc dlc
	s_waitcnt vmcnt(0)
	buffer_gl1_inv
	buffer_gl0_inv
	s_clause 0x1
	global_load_dwordx2 v[7:8], v2, s[26:27] offset:40
	global_load_dwordx2 v[11:12], v2, s[26:27]
	s_waitcnt vmcnt(1)
	v_and_b32_e32 v3, v8, v10
	v_and_b32_e32 v7, v7, v9
	v_mul_lo_u32 v3, v3, 24
	v_mul_hi_u32 v8, v7, 24
	v_mul_lo_u32 v7, v7, 24
	v_add_nc_u32_e32 v3, v8, v3
	s_waitcnt vmcnt(0)
	v_add_co_u32 v7, vcc_lo, v11, v7
	v_add_co_ci_u32_e32 v8, vcc_lo, v12, v3, vcc_lo
	global_load_dwordx2 v[7:8], v[7:8], off glc dlc
	s_waitcnt vmcnt(0)
	global_atomic_cmpswap_x2 v[11:12], v2, v[7:10], s[26:27] offset:24 glc
	s_waitcnt vmcnt(0)
	buffer_gl1_inv
	buffer_gl0_inv
	v_cmpx_ne_u64_e64 v[11:12], v[9:10]
	s_cbranch_execz .LBB5_911
; %bb.908:
	s_mov_b32 s7, 0
	.p2align	6
.LBB5_909:                              ; =>This Inner Loop Header: Depth=1
	s_sleep 1
	s_clause 0x1
	global_load_dwordx2 v[7:8], v2, s[26:27] offset:40
	global_load_dwordx2 v[13:14], v2, s[26:27]
	v_mov_b32_e32 v9, v11
	v_mov_b32_e32 v10, v12
	s_waitcnt vmcnt(1)
	v_and_b32_e32 v3, v7, v9
	v_and_b32_e32 v7, v8, v10
	s_waitcnt vmcnt(0)
	v_mad_u64_u32 v[11:12], null, v3, 24, v[13:14]
	v_mov_b32_e32 v3, v12
	v_mad_u64_u32 v[7:8], null, v7, 24, v[3:4]
	v_mov_b32_e32 v12, v7
	global_load_dwordx2 v[7:8], v[11:12], off glc dlc
	s_waitcnt vmcnt(0)
	global_atomic_cmpswap_x2 v[11:12], v2, v[7:10], s[26:27] offset:24 glc
	s_waitcnt vmcnt(0)
	buffer_gl1_inv
	buffer_gl0_inv
	v_cmp_eq_u64_e32 vcc_lo, v[11:12], v[9:10]
	s_or_b32 s7, vcc_lo, s7
	s_andn2_b32 exec_lo, exec_lo, s7
	s_cbranch_execnz .LBB5_909
; %bb.910:
	s_or_b32 exec_lo, exec_lo, s7
.LBB5_911:
	s_or_b32 exec_lo, exec_lo, s6
.LBB5_912:
	s_or_b32 exec_lo, exec_lo, s5
	v_mov_b32_e32 v2, 0
	v_readfirstlane_b32 s6, v11
	v_readfirstlane_b32 s7, v12
	s_mov_b32 s5, exec_lo
	s_clause 0x1
	global_load_dwordx2 v[13:14], v2, s[26:27] offset:40
	global_load_dwordx4 v[7:10], v2, s[26:27]
	s_waitcnt vmcnt(1)
	v_readfirstlane_b32 s10, v13
	v_readfirstlane_b32 s11, v14
	s_and_b64 s[10:11], s[6:7], s[10:11]
	s_mul_i32 s16, s11, 24
	s_mul_hi_u32 s17, s10, 24
	s_mul_i32 s18, s10, 24
	s_add_i32 s17, s17, s16
	s_waitcnt vmcnt(0)
	v_add_co_u32 v11, vcc_lo, v7, s18
	v_add_co_ci_u32_e32 v12, vcc_lo, s17, v8, vcc_lo
	s_and_saveexec_b32 s16, s4
	s_cbranch_execz .LBB5_914
; %bb.913:
	v_mov_b32_e32 v13, s5
	v_mov_b32_e32 v14, v2
	;; [unrolled: 1-line block ×4, first 2 shown]
	global_store_dwordx4 v[11:12], v[13:16], off offset:8
.LBB5_914:
	s_or_b32 exec_lo, exec_lo, s16
	s_lshl_b64 s[10:11], s[10:11], 12
	s_mov_b32 s16, 0
	v_add_co_u32 v9, vcc_lo, v9, s10
	v_add_co_ci_u32_e32 v10, vcc_lo, s11, v10, vcc_lo
	s_mov_b32 s17, s16
	v_readfirstlane_b32 s10, v9
	v_add_co_u32 v9, vcc_lo, v9, v48
	s_mov_b32 s18, s16
	s_mov_b32 s19, s16
	v_and_or_b32 v0, 0xffffff1f, v0, 32
	v_mov_b32_e32 v3, v2
	v_readfirstlane_b32 s11, v10
	v_mov_b32_e32 v13, s16
	v_add_co_ci_u32_e32 v10, vcc_lo, 0, v10, vcc_lo
	v_mov_b32_e32 v14, s17
	v_mov_b32_e32 v15, s18
	;; [unrolled: 1-line block ×3, first 2 shown]
	global_store_dwordx4 v48, v[0:3], s[10:11]
	global_store_dwordx4 v48, v[13:16], s[10:11] offset:16
	global_store_dwordx4 v48, v[13:16], s[10:11] offset:32
	;; [unrolled: 1-line block ×3, first 2 shown]
	s_and_saveexec_b32 s5, s4
	s_cbranch_execz .LBB5_922
; %bb.915:
	v_mov_b32_e32 v13, 0
	v_mov_b32_e32 v14, s6
	;; [unrolled: 1-line block ×3, first 2 shown]
	s_clause 0x1
	global_load_dwordx2 v[16:17], v13, s[26:27] offset:32 glc dlc
	global_load_dwordx2 v[0:1], v13, s[26:27] offset:40
	s_waitcnt vmcnt(0)
	v_readfirstlane_b32 s10, v0
	v_readfirstlane_b32 s11, v1
	s_and_b64 s[10:11], s[10:11], s[6:7]
	s_mul_i32 s11, s11, 24
	s_mul_hi_u32 s16, s10, 24
	s_mul_i32 s10, s10, 24
	s_add_i32 s16, s16, s11
	v_add_co_u32 v7, vcc_lo, v7, s10
	v_add_co_ci_u32_e32 v8, vcc_lo, s16, v8, vcc_lo
	s_mov_b32 s10, exec_lo
	global_store_dwordx2 v[7:8], v[16:17], off
	s_waitcnt_vscnt null, 0x0
	global_atomic_cmpswap_x2 v[2:3], v13, v[14:17], s[26:27] offset:32 glc
	s_waitcnt vmcnt(0)
	v_cmpx_ne_u64_e64 v[2:3], v[16:17]
	s_cbranch_execz .LBB5_918
; %bb.916:
	s_mov_b32 s11, 0
.LBB5_917:                              ; =>This Inner Loop Header: Depth=1
	v_mov_b32_e32 v0, s6
	v_mov_b32_e32 v1, s7
	s_sleep 1
	global_store_dwordx2 v[7:8], v[2:3], off
	s_waitcnt_vscnt null, 0x0
	global_atomic_cmpswap_x2 v[0:1], v13, v[0:3], s[26:27] offset:32 glc
	s_waitcnt vmcnt(0)
	v_cmp_eq_u64_e32 vcc_lo, v[0:1], v[2:3]
	v_mov_b32_e32 v3, v1
	v_mov_b32_e32 v2, v0
	s_or_b32 s11, vcc_lo, s11
	s_andn2_b32 exec_lo, exec_lo, s11
	s_cbranch_execnz .LBB5_917
.LBB5_918:
	s_or_b32 exec_lo, exec_lo, s10
	v_mov_b32_e32 v3, 0
	s_mov_b32 s11, exec_lo
	s_mov_b32 s10, exec_lo
	v_mbcnt_lo_u32_b32 v2, s11, 0
	global_load_dwordx2 v[0:1], v3, s[26:27] offset:16
	v_cmpx_eq_u32_e32 0, v2
	s_cbranch_execz .LBB5_920
; %bb.919:
	s_bcnt1_i32_b32 s11, s11
	v_mov_b32_e32 v2, s11
	s_waitcnt vmcnt(0)
	global_atomic_add_x2 v[0:1], v[2:3], off offset:8
.LBB5_920:
	s_or_b32 exec_lo, exec_lo, s10
	s_waitcnt vmcnt(0)
	global_load_dwordx2 v[2:3], v[0:1], off offset:16
	s_waitcnt vmcnt(0)
	v_cmp_eq_u64_e32 vcc_lo, 0, v[2:3]
	s_cbranch_vccnz .LBB5_922
; %bb.921:
	global_load_dword v0, v[0:1], off offset:24
	v_mov_b32_e32 v1, 0
	s_waitcnt vmcnt(0)
	v_and_b32_e32 v7, 0x7fffff, v0
	s_waitcnt_vscnt null, 0x0
	global_store_dwordx2 v[2:3], v[0:1], off
	v_readfirstlane_b32 m0, v7
	s_sendmsg sendmsg(MSG_INTERRUPT)
.LBB5_922:
	s_or_b32 exec_lo, exec_lo, s5
	s_branch .LBB5_926
	.p2align	6
.LBB5_923:                              ;   in Loop: Header=BB5_926 Depth=1
	s_or_b32 exec_lo, exec_lo, s5
	v_readfirstlane_b32 s5, v0
	s_cmp_eq_u32 s5, 0
	s_cbranch_scc1 .LBB5_925
; %bb.924:                              ;   in Loop: Header=BB5_926 Depth=1
	s_sleep 1
	s_cbranch_execnz .LBB5_926
	s_branch .LBB5_928
	.p2align	6
.LBB5_925:
	s_branch .LBB5_928
.LBB5_926:                              ; =>This Inner Loop Header: Depth=1
	v_mov_b32_e32 v0, 1
	s_and_saveexec_b32 s5, s4
	s_cbranch_execz .LBB5_923
; %bb.927:                              ;   in Loop: Header=BB5_926 Depth=1
	global_load_dword v0, v[11:12], off offset:20 glc dlc
	s_waitcnt vmcnt(0)
	buffer_gl1_inv
	buffer_gl0_inv
	v_and_b32_e32 v0, 1, v0
	s_branch .LBB5_923
.LBB5_928:
	global_load_dwordx2 v[7:8], v[9:10], off
	s_and_saveexec_b32 s5, s4
	s_cbranch_execz .LBB5_932
; %bb.929:
	v_mov_b32_e32 v11, 0
	s_clause 0x2
	global_load_dwordx2 v[2:3], v11, s[26:27] offset:40
	global_load_dwordx2 v[12:13], v11, s[26:27] offset:24 glc dlc
	global_load_dwordx2 v[9:10], v11, s[26:27]
	s_waitcnt vmcnt(2)
	v_add_co_u32 v14, vcc_lo, v2, 1
	v_add_co_ci_u32_e32 v15, vcc_lo, 0, v3, vcc_lo
	v_add_co_u32 v0, vcc_lo, v14, s6
	v_add_co_ci_u32_e32 v1, vcc_lo, s7, v15, vcc_lo
	v_cmp_eq_u64_e32 vcc_lo, 0, v[0:1]
	v_cndmask_b32_e32 v1, v1, v15, vcc_lo
	v_cndmask_b32_e32 v0, v0, v14, vcc_lo
	v_and_b32_e32 v3, v1, v3
	v_and_b32_e32 v2, v0, v2
	v_mul_lo_u32 v3, v3, 24
	v_mul_hi_u32 v14, v2, 24
	v_mul_lo_u32 v2, v2, 24
	v_add_nc_u32_e32 v3, v14, v3
	s_waitcnt vmcnt(0)
	v_add_co_u32 v9, vcc_lo, v9, v2
	v_mov_b32_e32 v2, v12
	v_add_co_ci_u32_e32 v10, vcc_lo, v10, v3, vcc_lo
	v_mov_b32_e32 v3, v13
	global_store_dwordx2 v[9:10], v[12:13], off
	s_waitcnt_vscnt null, 0x0
	global_atomic_cmpswap_x2 v[2:3], v11, v[0:3], s[26:27] offset:24 glc
	s_waitcnt vmcnt(0)
	v_cmp_ne_u64_e32 vcc_lo, v[2:3], v[12:13]
	s_and_b32 exec_lo, exec_lo, vcc_lo
	s_cbranch_execz .LBB5_932
; %bb.930:
	s_mov_b32 s4, 0
.LBB5_931:                              ; =>This Inner Loop Header: Depth=1
	s_sleep 1
	global_store_dwordx2 v[9:10], v[2:3], off
	s_waitcnt_vscnt null, 0x0
	global_atomic_cmpswap_x2 v[12:13], v11, v[0:3], s[26:27] offset:24 glc
	s_waitcnt vmcnt(0)
	v_cmp_eq_u64_e32 vcc_lo, v[12:13], v[2:3]
	v_mov_b32_e32 v2, v12
	v_mov_b32_e32 v3, v13
	s_or_b32 s4, vcc_lo, s4
	s_andn2_b32 exec_lo, exec_lo, s4
	s_cbranch_execnz .LBB5_931
.LBB5_932:
	s_or_b32 exec_lo, exec_lo, s5
.LBB5_933:
	v_readfirstlane_b32 s4, v49
	v_mov_b32_e32 v11, 0
	v_mov_b32_e32 v12, 0
	v_cmp_eq_u32_e64 s4, s4, v49
	s_and_saveexec_b32 s5, s4
	s_cbranch_execz .LBB5_939
; %bb.934:
	s_waitcnt vmcnt(0)
	v_mov_b32_e32 v0, 0
	s_mov_b32 s6, exec_lo
	global_load_dwordx2 v[13:14], v0, s[26:27] offset:24 glc dlc
	s_waitcnt vmcnt(0)
	buffer_gl1_inv
	buffer_gl0_inv
	s_clause 0x1
	global_load_dwordx2 v[1:2], v0, s[26:27] offset:40
	global_load_dwordx2 v[9:10], v0, s[26:27]
	s_waitcnt vmcnt(1)
	v_and_b32_e32 v2, v2, v14
	v_and_b32_e32 v1, v1, v13
	v_mul_lo_u32 v2, v2, 24
	v_mul_hi_u32 v3, v1, 24
	v_mul_lo_u32 v1, v1, 24
	v_add_nc_u32_e32 v2, v3, v2
	s_waitcnt vmcnt(0)
	v_add_co_u32 v1, vcc_lo, v9, v1
	v_add_co_ci_u32_e32 v2, vcc_lo, v10, v2, vcc_lo
	global_load_dwordx2 v[11:12], v[1:2], off glc dlc
	s_waitcnt vmcnt(0)
	global_atomic_cmpswap_x2 v[11:12], v0, v[11:14], s[26:27] offset:24 glc
	s_waitcnt vmcnt(0)
	buffer_gl1_inv
	buffer_gl0_inv
	v_cmpx_ne_u64_e64 v[11:12], v[13:14]
	s_cbranch_execz .LBB5_938
; %bb.935:
	s_mov_b32 s7, 0
	.p2align	6
.LBB5_936:                              ; =>This Inner Loop Header: Depth=1
	s_sleep 1
	s_clause 0x1
	global_load_dwordx2 v[1:2], v0, s[26:27] offset:40
	global_load_dwordx2 v[9:10], v0, s[26:27]
	v_mov_b32_e32 v14, v12
	v_mov_b32_e32 v13, v11
	s_waitcnt vmcnt(1)
	v_and_b32_e32 v1, v1, v13
	v_and_b32_e32 v2, v2, v14
	s_waitcnt vmcnt(0)
	v_mad_u64_u32 v[9:10], null, v1, 24, v[9:10]
	v_mov_b32_e32 v1, v10
	v_mad_u64_u32 v[1:2], null, v2, 24, v[1:2]
	v_mov_b32_e32 v10, v1
	global_load_dwordx2 v[11:12], v[9:10], off glc dlc
	s_waitcnt vmcnt(0)
	global_atomic_cmpswap_x2 v[11:12], v0, v[11:14], s[26:27] offset:24 glc
	s_waitcnt vmcnt(0)
	buffer_gl1_inv
	buffer_gl0_inv
	v_cmp_eq_u64_e32 vcc_lo, v[11:12], v[13:14]
	s_or_b32 s7, vcc_lo, s7
	s_andn2_b32 exec_lo, exec_lo, s7
	s_cbranch_execnz .LBB5_936
; %bb.937:
	s_or_b32 exec_lo, exec_lo, s7
.LBB5_938:
	s_or_b32 exec_lo, exec_lo, s6
.LBB5_939:
	s_or_b32 exec_lo, exec_lo, s5
	s_waitcnt vmcnt(0)
	v_mov_b32_e32 v10, 0
	v_readfirstlane_b32 s6, v11
	v_readfirstlane_b32 s7, v12
	s_mov_b32 s5, exec_lo
	s_clause 0x1
	global_load_dwordx2 v[13:14], v10, s[26:27] offset:40
	global_load_dwordx4 v[0:3], v10, s[26:27]
	s_waitcnt vmcnt(1)
	v_readfirstlane_b32 s10, v13
	v_readfirstlane_b32 s11, v14
	s_and_b64 s[10:11], s[6:7], s[10:11]
	s_mul_i32 s16, s11, 24
	s_mul_hi_u32 s17, s10, 24
	s_mul_i32 s18, s10, 24
	s_add_i32 s17, s17, s16
	s_waitcnt vmcnt(0)
	v_add_co_u32 v13, vcc_lo, v0, s18
	v_add_co_ci_u32_e32 v14, vcc_lo, s17, v1, vcc_lo
	s_and_saveexec_b32 s16, s4
	s_cbranch_execz .LBB5_941
; %bb.940:
	v_mov_b32_e32 v9, s5
	v_mov_b32_e32 v11, 2
	;; [unrolled: 1-line block ×3, first 2 shown]
	global_store_dwordx4 v[13:14], v[9:12], off offset:8
.LBB5_941:
	s_or_b32 exec_lo, exec_lo, s16
	s_lshl_b64 s[10:11], s[10:11], 12
	s_mov_b32 s16, 0
	v_add_co_u32 v2, vcc_lo, v2, s10
	v_add_co_ci_u32_e32 v3, vcc_lo, s11, v3, vcc_lo
	s_mov_b32 s17, s16
	s_mov_b32 s18, s16
	;; [unrolled: 1-line block ×3, first 2 shown]
	v_and_or_b32 v7, 0xffffff1d, v7, 34
	v_ashrrev_i32_e32 v10, 31, v6
	v_mov_b32_e32 v9, v6
	v_readfirstlane_b32 s10, v2
	v_readfirstlane_b32 s11, v3
	v_mov_b32_e32 v15, s16
	v_mov_b32_e32 v16, s17
	;; [unrolled: 1-line block ×4, first 2 shown]
	global_store_dwordx4 v48, v[7:10], s[10:11]
	global_store_dwordx4 v48, v[15:18], s[10:11] offset:16
	global_store_dwordx4 v48, v[15:18], s[10:11] offset:32
	;; [unrolled: 1-line block ×3, first 2 shown]
	s_and_saveexec_b32 s5, s4
	s_cbranch_execz .LBB5_949
; %bb.942:
	v_mov_b32_e32 v8, 0
	v_mov_b32_e32 v9, s6
	;; [unrolled: 1-line block ×3, first 2 shown]
	s_clause 0x1
	global_load_dwordx2 v[11:12], v8, s[26:27] offset:32 glc dlc
	global_load_dwordx2 v[2:3], v8, s[26:27] offset:40
	s_waitcnt vmcnt(0)
	v_readfirstlane_b32 s10, v2
	v_readfirstlane_b32 s11, v3
	s_and_b64 s[10:11], s[10:11], s[6:7]
	s_mul_i32 s11, s11, 24
	s_mul_hi_u32 s16, s10, 24
	s_mul_i32 s10, s10, 24
	s_add_i32 s16, s16, s11
	v_add_co_u32 v6, vcc_lo, v0, s10
	v_add_co_ci_u32_e32 v7, vcc_lo, s16, v1, vcc_lo
	s_mov_b32 s10, exec_lo
	global_store_dwordx2 v[6:7], v[11:12], off
	s_waitcnt_vscnt null, 0x0
	global_atomic_cmpswap_x2 v[2:3], v8, v[9:12], s[26:27] offset:32 glc
	s_waitcnt vmcnt(0)
	v_cmpx_ne_u64_e64 v[2:3], v[11:12]
	s_cbranch_execz .LBB5_945
; %bb.943:
	s_mov_b32 s11, 0
.LBB5_944:                              ; =>This Inner Loop Header: Depth=1
	v_mov_b32_e32 v0, s6
	v_mov_b32_e32 v1, s7
	s_sleep 1
	global_store_dwordx2 v[6:7], v[2:3], off
	s_waitcnt_vscnt null, 0x0
	global_atomic_cmpswap_x2 v[0:1], v8, v[0:3], s[26:27] offset:32 glc
	s_waitcnt vmcnt(0)
	v_cmp_eq_u64_e32 vcc_lo, v[0:1], v[2:3]
	v_mov_b32_e32 v3, v1
	v_mov_b32_e32 v2, v0
	s_or_b32 s11, vcc_lo, s11
	s_andn2_b32 exec_lo, exec_lo, s11
	s_cbranch_execnz .LBB5_944
.LBB5_945:
	s_or_b32 exec_lo, exec_lo, s10
	v_mov_b32_e32 v3, 0
	s_mov_b32 s11, exec_lo
	s_mov_b32 s10, exec_lo
	v_mbcnt_lo_u32_b32 v2, s11, 0
	global_load_dwordx2 v[0:1], v3, s[26:27] offset:16
	v_cmpx_eq_u32_e32 0, v2
	s_cbranch_execz .LBB5_947
; %bb.946:
	s_bcnt1_i32_b32 s11, s11
	v_mov_b32_e32 v2, s11
	s_waitcnt vmcnt(0)
	global_atomic_add_x2 v[0:1], v[2:3], off offset:8
.LBB5_947:
	s_or_b32 exec_lo, exec_lo, s10
	s_waitcnt vmcnt(0)
	global_load_dwordx2 v[2:3], v[0:1], off offset:16
	s_waitcnt vmcnt(0)
	v_cmp_eq_u64_e32 vcc_lo, 0, v[2:3]
	s_cbranch_vccnz .LBB5_949
; %bb.948:
	global_load_dword v0, v[0:1], off offset:24
	v_mov_b32_e32 v1, 0
	s_waitcnt vmcnt(0)
	v_and_b32_e32 v6, 0x7fffff, v0
	s_waitcnt_vscnt null, 0x0
	global_store_dwordx2 v[2:3], v[0:1], off
	v_readfirstlane_b32 m0, v6
	s_sendmsg sendmsg(MSG_INTERRUPT)
.LBB5_949:
	s_or_b32 exec_lo, exec_lo, s5
	s_branch .LBB5_953
	.p2align	6
.LBB5_950:                              ;   in Loop: Header=BB5_953 Depth=1
	s_or_b32 exec_lo, exec_lo, s5
	v_readfirstlane_b32 s5, v0
	s_cmp_eq_u32 s5, 0
	s_cbranch_scc1 .LBB5_952
; %bb.951:                              ;   in Loop: Header=BB5_953 Depth=1
	s_sleep 1
	s_cbranch_execnz .LBB5_953
	s_branch .LBB5_955
	.p2align	6
.LBB5_952:
	s_branch .LBB5_955
.LBB5_953:                              ; =>This Inner Loop Header: Depth=1
	v_mov_b32_e32 v0, 1
	s_and_saveexec_b32 s5, s4
	s_cbranch_execz .LBB5_950
; %bb.954:                              ;   in Loop: Header=BB5_953 Depth=1
	global_load_dword v0, v[13:14], off offset:20 glc dlc
	s_waitcnt vmcnt(0)
	buffer_gl1_inv
	buffer_gl0_inv
	v_and_b32_e32 v0, 1, v0
	s_branch .LBB5_950
.LBB5_955:
	s_and_saveexec_b32 s5, s4
	s_cbranch_execz .LBB5_959
; %bb.956:
	v_mov_b32_e32 v8, 0
	s_clause 0x2
	global_load_dwordx2 v[2:3], v8, s[26:27] offset:40
	global_load_dwordx2 v[9:10], v8, s[26:27] offset:24 glc dlc
	global_load_dwordx2 v[6:7], v8, s[26:27]
	s_waitcnt vmcnt(2)
	v_add_co_u32 v11, vcc_lo, v2, 1
	v_add_co_ci_u32_e32 v12, vcc_lo, 0, v3, vcc_lo
	v_add_co_u32 v0, vcc_lo, v11, s6
	v_add_co_ci_u32_e32 v1, vcc_lo, s7, v12, vcc_lo
	v_cmp_eq_u64_e32 vcc_lo, 0, v[0:1]
	v_cndmask_b32_e32 v1, v1, v12, vcc_lo
	v_cndmask_b32_e32 v0, v0, v11, vcc_lo
	v_and_b32_e32 v3, v1, v3
	v_and_b32_e32 v2, v0, v2
	v_mul_lo_u32 v3, v3, 24
	v_mul_hi_u32 v11, v2, 24
	v_mul_lo_u32 v2, v2, 24
	v_add_nc_u32_e32 v3, v11, v3
	s_waitcnt vmcnt(0)
	v_add_co_u32 v6, vcc_lo, v6, v2
	v_mov_b32_e32 v2, v9
	v_add_co_ci_u32_e32 v7, vcc_lo, v7, v3, vcc_lo
	v_mov_b32_e32 v3, v10
	global_store_dwordx2 v[6:7], v[9:10], off
	s_waitcnt_vscnt null, 0x0
	global_atomic_cmpswap_x2 v[2:3], v8, v[0:3], s[26:27] offset:24 glc
	s_waitcnt vmcnt(0)
	v_cmp_ne_u64_e32 vcc_lo, v[2:3], v[9:10]
	s_and_b32 exec_lo, exec_lo, vcc_lo
	s_cbranch_execz .LBB5_959
; %bb.957:
	s_mov_b32 s4, 0
.LBB5_958:                              ; =>This Inner Loop Header: Depth=1
	s_sleep 1
	global_store_dwordx2 v[6:7], v[2:3], off
	s_waitcnt_vscnt null, 0x0
	global_atomic_cmpswap_x2 v[9:10], v8, v[0:3], s[26:27] offset:24 glc
	s_waitcnt vmcnt(0)
	v_cmp_eq_u64_e32 vcc_lo, v[9:10], v[2:3]
	v_mov_b32_e32 v2, v9
	v_mov_b32_e32 v3, v10
	s_or_b32 s4, vcc_lo, s4
	s_andn2_b32 exec_lo, exec_lo, s4
	s_cbranch_execnz .LBB5_958
.LBB5_959:
	s_or_b32 exec_lo, exec_lo, s5
	v_readfirstlane_b32 s4, v49
	v_mov_b32_e32 v8, 0
	v_mov_b32_e32 v9, 0
	v_cmp_eq_u32_e64 s4, s4, v49
	s_and_saveexec_b32 s5, s4
	s_cbranch_execz .LBB5_965
; %bb.960:
	v_mov_b32_e32 v0, 0
	s_mov_b32 s6, exec_lo
	global_load_dwordx2 v[10:11], v0, s[26:27] offset:24 glc dlc
	s_waitcnt vmcnt(0)
	buffer_gl1_inv
	buffer_gl0_inv
	s_clause 0x1
	global_load_dwordx2 v[1:2], v0, s[26:27] offset:40
	global_load_dwordx2 v[6:7], v0, s[26:27]
	s_waitcnt vmcnt(1)
	v_and_b32_e32 v2, v2, v11
	v_and_b32_e32 v1, v1, v10
	v_mul_lo_u32 v2, v2, 24
	v_mul_hi_u32 v3, v1, 24
	v_mul_lo_u32 v1, v1, 24
	v_add_nc_u32_e32 v2, v3, v2
	s_waitcnt vmcnt(0)
	v_add_co_u32 v1, vcc_lo, v6, v1
	v_add_co_ci_u32_e32 v2, vcc_lo, v7, v2, vcc_lo
	global_load_dwordx2 v[8:9], v[1:2], off glc dlc
	s_waitcnt vmcnt(0)
	global_atomic_cmpswap_x2 v[8:9], v0, v[8:11], s[26:27] offset:24 glc
	s_waitcnt vmcnt(0)
	buffer_gl1_inv
	buffer_gl0_inv
	v_cmpx_ne_u64_e64 v[8:9], v[10:11]
	s_cbranch_execz .LBB5_964
; %bb.961:
	s_mov_b32 s7, 0
	.p2align	6
.LBB5_962:                              ; =>This Inner Loop Header: Depth=1
	s_sleep 1
	s_clause 0x1
	global_load_dwordx2 v[1:2], v0, s[26:27] offset:40
	global_load_dwordx2 v[6:7], v0, s[26:27]
	v_mov_b32_e32 v11, v9
	v_mov_b32_e32 v10, v8
	s_waitcnt vmcnt(1)
	v_and_b32_e32 v1, v1, v10
	v_and_b32_e32 v2, v2, v11
	s_waitcnt vmcnt(0)
	v_mad_u64_u32 v[6:7], null, v1, 24, v[6:7]
	v_mov_b32_e32 v1, v7
	v_mad_u64_u32 v[1:2], null, v2, 24, v[1:2]
	v_mov_b32_e32 v7, v1
	global_load_dwordx2 v[8:9], v[6:7], off glc dlc
	s_waitcnt vmcnt(0)
	global_atomic_cmpswap_x2 v[8:9], v0, v[8:11], s[26:27] offset:24 glc
	s_waitcnt vmcnt(0)
	buffer_gl1_inv
	buffer_gl0_inv
	v_cmp_eq_u64_e32 vcc_lo, v[8:9], v[10:11]
	s_or_b32 s7, vcc_lo, s7
	s_andn2_b32 exec_lo, exec_lo, s7
	s_cbranch_execnz .LBB5_962
; %bb.963:
	s_or_b32 exec_lo, exec_lo, s7
.LBB5_964:
	s_or_b32 exec_lo, exec_lo, s6
.LBB5_965:
	s_or_b32 exec_lo, exec_lo, s5
	v_mov_b32_e32 v7, 0
	v_readfirstlane_b32 s6, v8
	v_readfirstlane_b32 s7, v9
	s_mov_b32 s5, exec_lo
	s_clause 0x1
	global_load_dwordx2 v[10:11], v7, s[26:27] offset:40
	global_load_dwordx4 v[0:3], v7, s[26:27]
	s_waitcnt vmcnt(1)
	v_readfirstlane_b32 s10, v10
	v_readfirstlane_b32 s11, v11
	s_and_b64 s[10:11], s[6:7], s[10:11]
	s_mul_i32 s16, s11, 24
	s_mul_hi_u32 s17, s10, 24
	s_mul_i32 s18, s10, 24
	s_add_i32 s17, s17, s16
	s_waitcnt vmcnt(0)
	v_add_co_u32 v10, vcc_lo, v0, s18
	v_add_co_ci_u32_e32 v11, vcc_lo, s17, v1, vcc_lo
	s_and_saveexec_b32 s16, s4
	s_cbranch_execz .LBB5_967
; %bb.966:
	v_mov_b32_e32 v6, s5
	v_mov_b32_e32 v8, 2
	;; [unrolled: 1-line block ×3, first 2 shown]
	global_store_dwordx4 v[10:11], v[6:9], off offset:8
.LBB5_967:
	s_or_b32 exec_lo, exec_lo, s16
	s_lshl_b64 s[10:11], s[10:11], 12
	s_mov_b32 s16, 0
	v_add_co_u32 v2, vcc_lo, v2, s10
	v_add_co_ci_u32_e32 v3, vcc_lo, s11, v3, vcc_lo
	s_mov_b32 s17, s16
	v_add_co_u32 v12, vcc_lo, v2, v48
	s_mov_b32 s18, s16
	s_mov_b32 s19, s16
	v_mov_b32_e32 v6, 33
	v_mov_b32_e32 v8, v7
	;; [unrolled: 1-line block ×3, first 2 shown]
	v_readfirstlane_b32 s10, v2
	v_readfirstlane_b32 s11, v3
	v_mov_b32_e32 v14, s16
	v_add_co_ci_u32_e32 v13, vcc_lo, 0, v3, vcc_lo
	v_mov_b32_e32 v15, s17
	v_mov_b32_e32 v16, s18
	v_mov_b32_e32 v17, s19
	global_store_dwordx4 v48, v[6:9], s[10:11]
	global_store_dwordx4 v48, v[14:17], s[10:11] offset:16
	global_store_dwordx4 v48, v[14:17], s[10:11] offset:32
	;; [unrolled: 1-line block ×3, first 2 shown]
	s_and_saveexec_b32 s5, s4
	s_cbranch_execz .LBB5_975
; %bb.968:
	v_mov_b32_e32 v8, 0
	v_mov_b32_e32 v14, s6
	;; [unrolled: 1-line block ×3, first 2 shown]
	s_clause 0x1
	global_load_dwordx2 v[16:17], v8, s[26:27] offset:32 glc dlc
	global_load_dwordx2 v[2:3], v8, s[26:27] offset:40
	s_waitcnt vmcnt(0)
	v_readfirstlane_b32 s10, v2
	v_readfirstlane_b32 s11, v3
	s_and_b64 s[10:11], s[10:11], s[6:7]
	s_mul_i32 s11, s11, 24
	s_mul_hi_u32 s16, s10, 24
	s_mul_i32 s10, s10, 24
	s_add_i32 s16, s16, s11
	v_add_co_u32 v6, vcc_lo, v0, s10
	v_add_co_ci_u32_e32 v7, vcc_lo, s16, v1, vcc_lo
	s_mov_b32 s10, exec_lo
	global_store_dwordx2 v[6:7], v[16:17], off
	s_waitcnt_vscnt null, 0x0
	global_atomic_cmpswap_x2 v[2:3], v8, v[14:17], s[26:27] offset:32 glc
	s_waitcnt vmcnt(0)
	v_cmpx_ne_u64_e64 v[2:3], v[16:17]
	s_cbranch_execz .LBB5_971
; %bb.969:
	s_mov_b32 s11, 0
.LBB5_970:                              ; =>This Inner Loop Header: Depth=1
	v_mov_b32_e32 v0, s6
	v_mov_b32_e32 v1, s7
	s_sleep 1
	global_store_dwordx2 v[6:7], v[2:3], off
	s_waitcnt_vscnt null, 0x0
	global_atomic_cmpswap_x2 v[0:1], v8, v[0:3], s[26:27] offset:32 glc
	s_waitcnt vmcnt(0)
	v_cmp_eq_u64_e32 vcc_lo, v[0:1], v[2:3]
	v_mov_b32_e32 v3, v1
	v_mov_b32_e32 v2, v0
	s_or_b32 s11, vcc_lo, s11
	s_andn2_b32 exec_lo, exec_lo, s11
	s_cbranch_execnz .LBB5_970
.LBB5_971:
	s_or_b32 exec_lo, exec_lo, s10
	v_mov_b32_e32 v3, 0
	s_mov_b32 s11, exec_lo
	s_mov_b32 s10, exec_lo
	v_mbcnt_lo_u32_b32 v2, s11, 0
	global_load_dwordx2 v[0:1], v3, s[26:27] offset:16
	v_cmpx_eq_u32_e32 0, v2
	s_cbranch_execz .LBB5_973
; %bb.972:
	s_bcnt1_i32_b32 s11, s11
	v_mov_b32_e32 v2, s11
	s_waitcnt vmcnt(0)
	global_atomic_add_x2 v[0:1], v[2:3], off offset:8
.LBB5_973:
	s_or_b32 exec_lo, exec_lo, s10
	s_waitcnt vmcnt(0)
	global_load_dwordx2 v[2:3], v[0:1], off offset:16
	s_waitcnt vmcnt(0)
	v_cmp_eq_u64_e32 vcc_lo, 0, v[2:3]
	s_cbranch_vccnz .LBB5_975
; %bb.974:
	global_load_dword v0, v[0:1], off offset:24
	v_mov_b32_e32 v1, 0
	s_waitcnt vmcnt(0)
	v_and_b32_e32 v6, 0x7fffff, v0
	s_waitcnt_vscnt null, 0x0
	global_store_dwordx2 v[2:3], v[0:1], off
	v_readfirstlane_b32 m0, v6
	s_sendmsg sendmsg(MSG_INTERRUPT)
.LBB5_975:
	s_or_b32 exec_lo, exec_lo, s5
	s_branch .LBB5_979
	.p2align	6
.LBB5_976:                              ;   in Loop: Header=BB5_979 Depth=1
	s_or_b32 exec_lo, exec_lo, s5
	v_readfirstlane_b32 s5, v0
	s_cmp_eq_u32 s5, 0
	s_cbranch_scc1 .LBB5_978
; %bb.977:                              ;   in Loop: Header=BB5_979 Depth=1
	s_sleep 1
	s_cbranch_execnz .LBB5_979
	s_branch .LBB5_981
	.p2align	6
.LBB5_978:
	s_branch .LBB5_981
.LBB5_979:                              ; =>This Inner Loop Header: Depth=1
	v_mov_b32_e32 v0, 1
	s_and_saveexec_b32 s5, s4
	s_cbranch_execz .LBB5_976
; %bb.980:                              ;   in Loop: Header=BB5_979 Depth=1
	global_load_dword v0, v[10:11], off offset:20 glc dlc
	s_waitcnt vmcnt(0)
	buffer_gl1_inv
	buffer_gl0_inv
	v_and_b32_e32 v0, 1, v0
	s_branch .LBB5_976
.LBB5_981:
	global_load_dwordx2 v[0:1], v[12:13], off
	s_and_saveexec_b32 s5, s4
	s_cbranch_execz .LBB5_985
; %bb.982:
	v_mov_b32_e32 v10, 0
	s_clause 0x2
	global_load_dwordx2 v[2:3], v10, s[26:27] offset:40
	global_load_dwordx2 v[11:12], v10, s[26:27] offset:24 glc dlc
	global_load_dwordx2 v[8:9], v10, s[26:27]
	s_waitcnt vmcnt(2)
	v_add_co_u32 v13, vcc_lo, v2, 1
	v_add_co_ci_u32_e32 v14, vcc_lo, 0, v3, vcc_lo
	v_add_co_u32 v6, vcc_lo, v13, s6
	v_add_co_ci_u32_e32 v7, vcc_lo, s7, v14, vcc_lo
	v_cmp_eq_u64_e32 vcc_lo, 0, v[6:7]
	v_cndmask_b32_e32 v7, v7, v14, vcc_lo
	v_cndmask_b32_e32 v6, v6, v13, vcc_lo
	v_and_b32_e32 v3, v7, v3
	v_and_b32_e32 v2, v6, v2
	v_mul_lo_u32 v3, v3, 24
	v_mul_hi_u32 v13, v2, 24
	v_mul_lo_u32 v2, v2, 24
	v_add_nc_u32_e32 v3, v13, v3
	s_waitcnt vmcnt(0)
	v_add_co_u32 v2, vcc_lo, v8, v2
	v_mov_b32_e32 v8, v11
	v_add_co_ci_u32_e32 v3, vcc_lo, v9, v3, vcc_lo
	v_mov_b32_e32 v9, v12
	global_store_dwordx2 v[2:3], v[11:12], off
	s_waitcnt_vscnt null, 0x0
	global_atomic_cmpswap_x2 v[8:9], v10, v[6:9], s[26:27] offset:24 glc
	s_waitcnt vmcnt(0)
	v_cmp_ne_u64_e32 vcc_lo, v[8:9], v[11:12]
	s_and_b32 exec_lo, exec_lo, vcc_lo
	s_cbranch_execz .LBB5_985
; %bb.983:
	s_mov_b32 s4, 0
.LBB5_984:                              ; =>This Inner Loop Header: Depth=1
	s_sleep 1
	global_store_dwordx2 v[2:3], v[8:9], off
	s_waitcnt_vscnt null, 0x0
	global_atomic_cmpswap_x2 v[11:12], v10, v[6:9], s[26:27] offset:24 glc
	s_waitcnt vmcnt(0)
	v_cmp_eq_u64_e32 vcc_lo, v[11:12], v[8:9]
	v_mov_b32_e32 v8, v11
	v_mov_b32_e32 v9, v12
	s_or_b32 s4, vcc_lo, s4
	s_andn2_b32 exec_lo, exec_lo, s4
	s_cbranch_execnz .LBB5_984
.LBB5_985:
	s_or_b32 exec_lo, exec_lo, s5
	s_and_b32 vcc_lo, exec_lo, s34
	s_cbranch_vccz .LBB5_1064
; %bb.986:
	s_waitcnt vmcnt(0)
	v_and_b32_e32 v33, 2, v0
	v_mov_b32_e32 v10, 0
	v_and_b32_e32 v6, -3, v0
	v_mov_b32_e32 v7, v1
	v_mov_b32_e32 v11, 2
	;; [unrolled: 1-line block ×3, first 2 shown]
	s_mov_b64 s[10:11], 3
	s_getpc_b64 s[6:7]
	s_add_u32 s6, s6, .str.9@rel32@lo+4
	s_addc_u32 s7, s7, .str.9@rel32@hi+12
	s_branch .LBB5_988
.LBB5_987:                              ;   in Loop: Header=BB5_988 Depth=1
	s_or_b32 exec_lo, exec_lo, s5
	s_sub_u32 s10, s10, s16
	s_subb_u32 s11, s11, s17
	s_add_u32 s6, s6, s16
	s_addc_u32 s7, s7, s17
	s_cmp_lg_u64 s[10:11], 0
	s_cbranch_scc0 .LBB5_1063
.LBB5_988:                              ; =>This Loop Header: Depth=1
                                        ;     Child Loop BB5_997 Depth 2
                                        ;     Child Loop BB5_993 Depth 2
	;; [unrolled: 1-line block ×11, first 2 shown]
	v_cmp_lt_u64_e64 s4, s[10:11], 56
	v_cmp_gt_u64_e64 s5, s[10:11], 7
                                        ; implicit-def: $vgpr15_vgpr16
                                        ; implicit-def: $sgpr22
	s_and_b32 s4, s4, exec_lo
	s_cselect_b32 s17, s11, 0
	s_cselect_b32 s16, s10, 56
	s_and_b32 vcc_lo, exec_lo, s5
	s_mov_b32 s4, -1
	s_cbranch_vccz .LBB5_995
; %bb.989:                              ;   in Loop: Header=BB5_988 Depth=1
	s_andn2_b32 vcc_lo, exec_lo, s4
	s_mov_b64 s[4:5], s[6:7]
	s_cbranch_vccz .LBB5_999
.LBB5_990:                              ;   in Loop: Header=BB5_988 Depth=1
	s_cmp_gt_u32 s22, 7
	s_cbranch_scc1 .LBB5_1000
.LBB5_991:                              ;   in Loop: Header=BB5_988 Depth=1
	v_mov_b32_e32 v17, 0
	v_mov_b32_e32 v18, 0
	s_cmp_eq_u32 s22, 0
	s_cbranch_scc1 .LBB5_994
; %bb.992:                              ;   in Loop: Header=BB5_988 Depth=1
	s_mov_b64 s[18:19], 0
	s_mov_b64 s[20:21], 0
.LBB5_993:                              ;   Parent Loop BB5_988 Depth=1
                                        ; =>  This Inner Loop Header: Depth=2
	s_add_u32 s24, s4, s20
	s_addc_u32 s25, s5, s21
	s_add_u32 s20, s20, 1
	global_load_ubyte v2, v10, s[24:25]
	s_addc_u32 s21, s21, 0
	s_waitcnt vmcnt(0)
	v_and_b32_e32 v9, 0xffff, v2
	v_lshlrev_b64 v[2:3], s18, v[9:10]
	s_add_u32 s18, s18, 8
	s_addc_u32 s19, s19, 0
	s_cmp_lg_u32 s22, s20
	v_or_b32_e32 v17, v2, v17
	v_or_b32_e32 v18, v3, v18
	s_cbranch_scc1 .LBB5_993
.LBB5_994:                              ;   in Loop: Header=BB5_988 Depth=1
	s_mov_b32 s23, 0
	s_cbranch_execz .LBB5_1001
	s_branch .LBB5_1002
.LBB5_995:                              ;   in Loop: Header=BB5_988 Depth=1
	v_mov_b32_e32 v15, 0
	v_mov_b32_e32 v16, 0
	s_cmp_eq_u64 s[10:11], 0
	s_mov_b64 s[4:5], 0
	s_cbranch_scc1 .LBB5_998
; %bb.996:                              ;   in Loop: Header=BB5_988 Depth=1
	v_mov_b32_e32 v15, 0
	v_mov_b32_e32 v16, 0
	s_lshl_b64 s[18:19], s[16:17], 3
	s_mov_b64 s[20:21], s[6:7]
.LBB5_997:                              ;   Parent Loop BB5_988 Depth=1
                                        ; =>  This Inner Loop Header: Depth=2
	global_load_ubyte v2, v10, s[20:21]
	s_waitcnt vmcnt(0)
	v_and_b32_e32 v9, 0xffff, v2
	v_lshlrev_b64 v[2:3], s4, v[9:10]
	s_add_u32 s4, s4, 8
	s_addc_u32 s5, s5, 0
	s_add_u32 s20, s20, 1
	s_addc_u32 s21, s21, 0
	s_cmp_lg_u32 s18, s4
	v_or_b32_e32 v15, v2, v15
	v_or_b32_e32 v16, v3, v16
	s_cbranch_scc1 .LBB5_997
.LBB5_998:                              ;   in Loop: Header=BB5_988 Depth=1
	s_mov_b32 s22, 0
	s_mov_b64 s[4:5], s[6:7]
	s_cbranch_execnz .LBB5_990
.LBB5_999:                              ;   in Loop: Header=BB5_988 Depth=1
	global_load_dwordx2 v[15:16], v10, s[6:7]
	s_add_i32 s22, s16, -8
	s_add_u32 s4, s6, 8
	s_addc_u32 s5, s7, 0
	s_cmp_gt_u32 s22, 7
	s_cbranch_scc0 .LBB5_991
.LBB5_1000:                             ;   in Loop: Header=BB5_988 Depth=1
                                        ; implicit-def: $vgpr17_vgpr18
                                        ; implicit-def: $sgpr23
.LBB5_1001:                             ;   in Loop: Header=BB5_988 Depth=1
	global_load_dwordx2 v[17:18], v10, s[4:5]
	s_add_i32 s23, s22, -8
	s_add_u32 s4, s4, 8
	s_addc_u32 s5, s5, 0
.LBB5_1002:                             ;   in Loop: Header=BB5_988 Depth=1
	s_cmp_gt_u32 s23, 7
	s_cbranch_scc1 .LBB5_1007
; %bb.1003:                             ;   in Loop: Header=BB5_988 Depth=1
	v_mov_b32_e32 v19, 0
	v_mov_b32_e32 v20, 0
	s_cmp_eq_u32 s23, 0
	s_cbranch_scc1 .LBB5_1006
; %bb.1004:                             ;   in Loop: Header=BB5_988 Depth=1
	s_mov_b64 s[18:19], 0
	s_mov_b64 s[20:21], 0
.LBB5_1005:                             ;   Parent Loop BB5_988 Depth=1
                                        ; =>  This Inner Loop Header: Depth=2
	s_add_u32 s24, s4, s20
	s_addc_u32 s25, s5, s21
	s_add_u32 s20, s20, 1
	global_load_ubyte v2, v10, s[24:25]
	s_addc_u32 s21, s21, 0
	s_waitcnt vmcnt(0)
	v_and_b32_e32 v9, 0xffff, v2
	v_lshlrev_b64 v[2:3], s18, v[9:10]
	s_add_u32 s18, s18, 8
	s_addc_u32 s19, s19, 0
	s_cmp_lg_u32 s23, s20
	v_or_b32_e32 v19, v2, v19
	v_or_b32_e32 v20, v3, v20
	s_cbranch_scc1 .LBB5_1005
.LBB5_1006:                             ;   in Loop: Header=BB5_988 Depth=1
	s_mov_b32 s22, 0
	s_cbranch_execz .LBB5_1008
	s_branch .LBB5_1009
.LBB5_1007:                             ;   in Loop: Header=BB5_988 Depth=1
                                        ; implicit-def: $sgpr22
.LBB5_1008:                             ;   in Loop: Header=BB5_988 Depth=1
	global_load_dwordx2 v[19:20], v10, s[4:5]
	s_add_i32 s22, s23, -8
	s_add_u32 s4, s4, 8
	s_addc_u32 s5, s5, 0
.LBB5_1009:                             ;   in Loop: Header=BB5_988 Depth=1
	s_cmp_gt_u32 s22, 7
	s_cbranch_scc1 .LBB5_1014
; %bb.1010:                             ;   in Loop: Header=BB5_988 Depth=1
	v_mov_b32_e32 v21, 0
	v_mov_b32_e32 v22, 0
	s_cmp_eq_u32 s22, 0
	s_cbranch_scc1 .LBB5_1013
; %bb.1011:                             ;   in Loop: Header=BB5_988 Depth=1
	s_mov_b64 s[18:19], 0
	s_mov_b64 s[20:21], 0
.LBB5_1012:                             ;   Parent Loop BB5_988 Depth=1
                                        ; =>  This Inner Loop Header: Depth=2
	s_add_u32 s24, s4, s20
	s_addc_u32 s25, s5, s21
	s_add_u32 s20, s20, 1
	global_load_ubyte v2, v10, s[24:25]
	s_addc_u32 s21, s21, 0
	s_waitcnt vmcnt(0)
	v_and_b32_e32 v9, 0xffff, v2
	v_lshlrev_b64 v[2:3], s18, v[9:10]
	s_add_u32 s18, s18, 8
	s_addc_u32 s19, s19, 0
	s_cmp_lg_u32 s22, s20
	v_or_b32_e32 v21, v2, v21
	v_or_b32_e32 v22, v3, v22
	s_cbranch_scc1 .LBB5_1012
.LBB5_1013:                             ;   in Loop: Header=BB5_988 Depth=1
	s_mov_b32 s23, 0
	s_cbranch_execz .LBB5_1015
	s_branch .LBB5_1016
.LBB5_1014:                             ;   in Loop: Header=BB5_988 Depth=1
                                        ; implicit-def: $vgpr21_vgpr22
                                        ; implicit-def: $sgpr23
.LBB5_1015:                             ;   in Loop: Header=BB5_988 Depth=1
	global_load_dwordx2 v[21:22], v10, s[4:5]
	s_add_i32 s23, s22, -8
	s_add_u32 s4, s4, 8
	s_addc_u32 s5, s5, 0
.LBB5_1016:                             ;   in Loop: Header=BB5_988 Depth=1
	s_cmp_gt_u32 s23, 7
	s_cbranch_scc1 .LBB5_1021
; %bb.1017:                             ;   in Loop: Header=BB5_988 Depth=1
	v_mov_b32_e32 v23, 0
	v_mov_b32_e32 v24, 0
	s_cmp_eq_u32 s23, 0
	s_cbranch_scc1 .LBB5_1020
; %bb.1018:                             ;   in Loop: Header=BB5_988 Depth=1
	s_mov_b64 s[18:19], 0
	s_mov_b64 s[20:21], 0
.LBB5_1019:                             ;   Parent Loop BB5_988 Depth=1
                                        ; =>  This Inner Loop Header: Depth=2
	s_add_u32 s24, s4, s20
	s_addc_u32 s25, s5, s21
	s_add_u32 s20, s20, 1
	global_load_ubyte v2, v10, s[24:25]
	s_addc_u32 s21, s21, 0
	s_waitcnt vmcnt(0)
	v_and_b32_e32 v9, 0xffff, v2
	v_lshlrev_b64 v[2:3], s18, v[9:10]
	s_add_u32 s18, s18, 8
	s_addc_u32 s19, s19, 0
	s_cmp_lg_u32 s23, s20
	v_or_b32_e32 v23, v2, v23
	v_or_b32_e32 v24, v3, v24
	s_cbranch_scc1 .LBB5_1019
.LBB5_1020:                             ;   in Loop: Header=BB5_988 Depth=1
	s_mov_b32 s22, 0
	s_cbranch_execz .LBB5_1022
	s_branch .LBB5_1023
.LBB5_1021:                             ;   in Loop: Header=BB5_988 Depth=1
                                        ; implicit-def: $sgpr22
.LBB5_1022:                             ;   in Loop: Header=BB5_988 Depth=1
	global_load_dwordx2 v[23:24], v10, s[4:5]
	s_add_i32 s22, s23, -8
	s_add_u32 s4, s4, 8
	s_addc_u32 s5, s5, 0
.LBB5_1023:                             ;   in Loop: Header=BB5_988 Depth=1
	s_cmp_gt_u32 s22, 7
	s_cbranch_scc1 .LBB5_1028
; %bb.1024:                             ;   in Loop: Header=BB5_988 Depth=1
	v_mov_b32_e32 v25, 0
	v_mov_b32_e32 v26, 0
	s_cmp_eq_u32 s22, 0
	s_cbranch_scc1 .LBB5_1027
; %bb.1025:                             ;   in Loop: Header=BB5_988 Depth=1
	s_mov_b64 s[18:19], 0
	s_mov_b64 s[20:21], 0
.LBB5_1026:                             ;   Parent Loop BB5_988 Depth=1
                                        ; =>  This Inner Loop Header: Depth=2
	s_add_u32 s24, s4, s20
	s_addc_u32 s25, s5, s21
	s_add_u32 s20, s20, 1
	global_load_ubyte v2, v10, s[24:25]
	s_addc_u32 s21, s21, 0
	s_waitcnt vmcnt(0)
	v_and_b32_e32 v9, 0xffff, v2
	v_lshlrev_b64 v[2:3], s18, v[9:10]
	s_add_u32 s18, s18, 8
	s_addc_u32 s19, s19, 0
	s_cmp_lg_u32 s22, s20
	v_or_b32_e32 v25, v2, v25
	v_or_b32_e32 v26, v3, v26
	s_cbranch_scc1 .LBB5_1026
.LBB5_1027:                             ;   in Loop: Header=BB5_988 Depth=1
	s_mov_b32 s23, 0
	s_cbranch_execz .LBB5_1029
	s_branch .LBB5_1030
.LBB5_1028:                             ;   in Loop: Header=BB5_988 Depth=1
                                        ; implicit-def: $vgpr25_vgpr26
                                        ; implicit-def: $sgpr23
.LBB5_1029:                             ;   in Loop: Header=BB5_988 Depth=1
	global_load_dwordx2 v[25:26], v10, s[4:5]
	s_add_i32 s23, s22, -8
	s_add_u32 s4, s4, 8
	s_addc_u32 s5, s5, 0
.LBB5_1030:                             ;   in Loop: Header=BB5_988 Depth=1
	s_cmp_gt_u32 s23, 7
	s_cbranch_scc1 .LBB5_1035
; %bb.1031:                             ;   in Loop: Header=BB5_988 Depth=1
	v_mov_b32_e32 v27, 0
	v_mov_b32_e32 v28, 0
	s_cmp_eq_u32 s23, 0
	s_cbranch_scc1 .LBB5_1034
; %bb.1032:                             ;   in Loop: Header=BB5_988 Depth=1
	s_mov_b64 s[18:19], 0
	s_mov_b64 s[20:21], s[4:5]
.LBB5_1033:                             ;   Parent Loop BB5_988 Depth=1
                                        ; =>  This Inner Loop Header: Depth=2
	global_load_ubyte v2, v10, s[20:21]
	s_add_i32 s23, s23, -1
	s_waitcnt vmcnt(0)
	v_and_b32_e32 v9, 0xffff, v2
	v_lshlrev_b64 v[2:3], s18, v[9:10]
	s_add_u32 s18, s18, 8
	s_addc_u32 s19, s19, 0
	s_add_u32 s20, s20, 1
	s_addc_u32 s21, s21, 0
	s_cmp_lg_u32 s23, 0
	v_or_b32_e32 v27, v2, v27
	v_or_b32_e32 v28, v3, v28
	s_cbranch_scc1 .LBB5_1033
.LBB5_1034:                             ;   in Loop: Header=BB5_988 Depth=1
	s_cbranch_execz .LBB5_1036
	s_branch .LBB5_1037
.LBB5_1035:                             ;   in Loop: Header=BB5_988 Depth=1
.LBB5_1036:                             ;   in Loop: Header=BB5_988 Depth=1
	global_load_dwordx2 v[27:28], v10, s[4:5]
.LBB5_1037:                             ;   in Loop: Header=BB5_988 Depth=1
	v_readfirstlane_b32 s4, v49
	v_mov_b32_e32 v2, 0
	v_mov_b32_e32 v3, 0
	v_cmp_eq_u32_e64 s4, s4, v49
	s_and_saveexec_b32 s5, s4
	s_cbranch_execz .LBB5_1043
; %bb.1038:                             ;   in Loop: Header=BB5_988 Depth=1
	global_load_dwordx2 v[31:32], v10, s[26:27] offset:24 glc dlc
	s_waitcnt vmcnt(0)
	buffer_gl1_inv
	buffer_gl0_inv
	s_clause 0x1
	global_load_dwordx2 v[2:3], v10, s[26:27] offset:40
	global_load_dwordx2 v[8:9], v10, s[26:27]
	s_mov_b32 s18, exec_lo
	s_waitcnt vmcnt(1)
	v_and_b32_e32 v3, v3, v32
	v_and_b32_e32 v2, v2, v31
	v_mul_lo_u32 v3, v3, 24
	v_mul_hi_u32 v13, v2, 24
	v_mul_lo_u32 v2, v2, 24
	v_add_nc_u32_e32 v3, v13, v3
	s_waitcnt vmcnt(0)
	v_add_co_u32 v2, vcc_lo, v8, v2
	v_add_co_ci_u32_e32 v3, vcc_lo, v9, v3, vcc_lo
	global_load_dwordx2 v[29:30], v[2:3], off glc dlc
	s_waitcnt vmcnt(0)
	global_atomic_cmpswap_x2 v[2:3], v10, v[29:32], s[26:27] offset:24 glc
	s_waitcnt vmcnt(0)
	buffer_gl1_inv
	buffer_gl0_inv
	v_cmpx_ne_u64_e64 v[2:3], v[31:32]
	s_cbranch_execz .LBB5_1042
; %bb.1039:                             ;   in Loop: Header=BB5_988 Depth=1
	s_mov_b32 s19, 0
	.p2align	6
.LBB5_1040:                             ;   Parent Loop BB5_988 Depth=1
                                        ; =>  This Inner Loop Header: Depth=2
	s_sleep 1
	s_clause 0x1
	global_load_dwordx2 v[8:9], v10, s[26:27] offset:40
	global_load_dwordx2 v[13:14], v10, s[26:27]
	v_mov_b32_e32 v32, v3
	v_mov_b32_e32 v31, v2
	s_waitcnt vmcnt(1)
	v_and_b32_e32 v2, v8, v31
	v_and_b32_e32 v8, v9, v32
	s_waitcnt vmcnt(0)
	v_mad_u64_u32 v[2:3], null, v2, 24, v[13:14]
	v_mad_u64_u32 v[8:9], null, v8, 24, v[3:4]
	v_mov_b32_e32 v3, v8
	global_load_dwordx2 v[29:30], v[2:3], off glc dlc
	s_waitcnt vmcnt(0)
	global_atomic_cmpswap_x2 v[2:3], v10, v[29:32], s[26:27] offset:24 glc
	s_waitcnt vmcnt(0)
	buffer_gl1_inv
	buffer_gl0_inv
	v_cmp_eq_u64_e32 vcc_lo, v[2:3], v[31:32]
	s_or_b32 s19, vcc_lo, s19
	s_andn2_b32 exec_lo, exec_lo, s19
	s_cbranch_execnz .LBB5_1040
; %bb.1041:                             ;   in Loop: Header=BB5_988 Depth=1
	s_or_b32 exec_lo, exec_lo, s19
.LBB5_1042:                             ;   in Loop: Header=BB5_988 Depth=1
	s_or_b32 exec_lo, exec_lo, s18
.LBB5_1043:                             ;   in Loop: Header=BB5_988 Depth=1
	s_or_b32 exec_lo, exec_lo, s5
	s_clause 0x1
	global_load_dwordx2 v[8:9], v10, s[26:27] offset:40
	global_load_dwordx4 v[29:32], v10, s[26:27]
	v_readfirstlane_b32 s18, v2
	v_readfirstlane_b32 s19, v3
	s_mov_b32 s5, exec_lo
	s_waitcnt vmcnt(1)
	v_readfirstlane_b32 s20, v8
	v_readfirstlane_b32 s21, v9
	s_and_b64 s[20:21], s[18:19], s[20:21]
	s_mul_i32 s22, s21, 24
	s_mul_hi_u32 s23, s20, 24
	s_mul_i32 s24, s20, 24
	s_add_i32 s23, s23, s22
	s_waitcnt vmcnt(0)
	v_add_co_u32 v2, vcc_lo, v29, s24
	v_add_co_ci_u32_e32 v3, vcc_lo, s23, v30, vcc_lo
	s_and_saveexec_b32 s22, s4
	s_cbranch_execz .LBB5_1045
; %bb.1044:                             ;   in Loop: Header=BB5_988 Depth=1
	v_mov_b32_e32 v9, s5
	global_store_dwordx4 v[2:3], v[9:12], off offset:8
.LBB5_1045:                             ;   in Loop: Header=BB5_988 Depth=1
	s_or_b32 exec_lo, exec_lo, s22
	s_lshl_b64 s[20:21], s[20:21], 12
	v_cmp_gt_u64_e64 vcc_lo, s[10:11], 56
	v_or_b32_e32 v9, v6, v33
	v_add_co_u32 v31, s5, v31, s20
	v_add_co_ci_u32_e64 v32, s5, s21, v32, s5
	s_lshl_b32 s5, s16, 2
	v_or_b32_e32 v8, 0, v7
	v_cndmask_b32_e32 v6, v9, v6, vcc_lo
	s_add_i32 s5, s5, 28
	v_readfirstlane_b32 s20, v31
	s_and_b32 s5, s5, 0x1e0
	v_cndmask_b32_e32 v14, v8, v7, vcc_lo
	v_readfirstlane_b32 s21, v32
	v_and_or_b32 v13, 0xffffff1f, v6, s5
	global_store_dwordx4 v48, v[13:16], s[20:21]
	global_store_dwordx4 v48, v[17:20], s[20:21] offset:16
	global_store_dwordx4 v48, v[21:24], s[20:21] offset:32
	;; [unrolled: 1-line block ×3, first 2 shown]
	s_and_saveexec_b32 s5, s4
	s_cbranch_execz .LBB5_1053
; %bb.1046:                             ;   in Loop: Header=BB5_988 Depth=1
	s_clause 0x1
	global_load_dwordx2 v[17:18], v10, s[26:27] offset:32 glc dlc
	global_load_dwordx2 v[6:7], v10, s[26:27] offset:40
	v_mov_b32_e32 v15, s18
	v_mov_b32_e32 v16, s19
	s_waitcnt vmcnt(0)
	v_readfirstlane_b32 s20, v6
	v_readfirstlane_b32 s21, v7
	s_and_b64 s[20:21], s[20:21], s[18:19]
	s_mul_i32 s21, s21, 24
	s_mul_hi_u32 s22, s20, 24
	s_mul_i32 s20, s20, 24
	s_add_i32 s22, s22, s21
	v_add_co_u32 v13, vcc_lo, v29, s20
	v_add_co_ci_u32_e32 v14, vcc_lo, s22, v30, vcc_lo
	s_mov_b32 s20, exec_lo
	global_store_dwordx2 v[13:14], v[17:18], off
	s_waitcnt_vscnt null, 0x0
	global_atomic_cmpswap_x2 v[8:9], v10, v[15:18], s[26:27] offset:32 glc
	s_waitcnt vmcnt(0)
	v_cmpx_ne_u64_e64 v[8:9], v[17:18]
	s_cbranch_execz .LBB5_1049
; %bb.1047:                             ;   in Loop: Header=BB5_988 Depth=1
	s_mov_b32 s21, 0
.LBB5_1048:                             ;   Parent Loop BB5_988 Depth=1
                                        ; =>  This Inner Loop Header: Depth=2
	v_mov_b32_e32 v6, s18
	v_mov_b32_e32 v7, s19
	s_sleep 1
	global_store_dwordx2 v[13:14], v[8:9], off
	s_waitcnt_vscnt null, 0x0
	global_atomic_cmpswap_x2 v[6:7], v10, v[6:9], s[26:27] offset:32 glc
	s_waitcnt vmcnt(0)
	v_cmp_eq_u64_e32 vcc_lo, v[6:7], v[8:9]
	v_mov_b32_e32 v9, v7
	v_mov_b32_e32 v8, v6
	s_or_b32 s21, vcc_lo, s21
	s_andn2_b32 exec_lo, exec_lo, s21
	s_cbranch_execnz .LBB5_1048
.LBB5_1049:                             ;   in Loop: Header=BB5_988 Depth=1
	s_or_b32 exec_lo, exec_lo, s20
	global_load_dwordx2 v[6:7], v10, s[26:27] offset:16
	s_mov_b32 s21, exec_lo
	s_mov_b32 s20, exec_lo
	v_mbcnt_lo_u32_b32 v8, s21, 0
	v_cmpx_eq_u32_e32 0, v8
	s_cbranch_execz .LBB5_1051
; %bb.1050:                             ;   in Loop: Header=BB5_988 Depth=1
	s_bcnt1_i32_b32 s21, s21
	v_mov_b32_e32 v9, s21
	s_waitcnt vmcnt(0)
	global_atomic_add_x2 v[6:7], v[9:10], off offset:8
.LBB5_1051:                             ;   in Loop: Header=BB5_988 Depth=1
	s_or_b32 exec_lo, exec_lo, s20
	s_waitcnt vmcnt(0)
	global_load_dwordx2 v[13:14], v[6:7], off offset:16
	s_waitcnt vmcnt(0)
	v_cmp_eq_u64_e32 vcc_lo, 0, v[13:14]
	s_cbranch_vccnz .LBB5_1053
; %bb.1052:                             ;   in Loop: Header=BB5_988 Depth=1
	global_load_dword v9, v[6:7], off offset:24
	s_waitcnt vmcnt(0)
	v_and_b32_e32 v6, 0x7fffff, v9
	s_waitcnt_vscnt null, 0x0
	global_store_dwordx2 v[13:14], v[9:10], off
	v_readfirstlane_b32 m0, v6
	s_sendmsg sendmsg(MSG_INTERRUPT)
.LBB5_1053:                             ;   in Loop: Header=BB5_988 Depth=1
	s_or_b32 exec_lo, exec_lo, s5
	v_add_co_u32 v6, vcc_lo, v31, v48
	v_add_co_ci_u32_e32 v7, vcc_lo, 0, v32, vcc_lo
	s_branch .LBB5_1057
	.p2align	6
.LBB5_1054:                             ;   in Loop: Header=BB5_1057 Depth=2
	s_or_b32 exec_lo, exec_lo, s5
	v_readfirstlane_b32 s5, v8
	s_cmp_eq_u32 s5, 0
	s_cbranch_scc1 .LBB5_1056
; %bb.1055:                             ;   in Loop: Header=BB5_1057 Depth=2
	s_sleep 1
	s_cbranch_execnz .LBB5_1057
	s_branch .LBB5_1059
	.p2align	6
.LBB5_1056:                             ;   in Loop: Header=BB5_988 Depth=1
	s_branch .LBB5_1059
.LBB5_1057:                             ;   Parent Loop BB5_988 Depth=1
                                        ; =>  This Inner Loop Header: Depth=2
	v_mov_b32_e32 v8, 1
	s_and_saveexec_b32 s5, s4
	s_cbranch_execz .LBB5_1054
; %bb.1058:                             ;   in Loop: Header=BB5_1057 Depth=2
	global_load_dword v8, v[2:3], off offset:20 glc dlc
	s_waitcnt vmcnt(0)
	buffer_gl1_inv
	buffer_gl0_inv
	v_and_b32_e32 v8, 1, v8
	s_branch .LBB5_1054
.LBB5_1059:                             ;   in Loop: Header=BB5_988 Depth=1
	global_load_dwordx4 v[6:9], v[6:7], off
	s_and_saveexec_b32 s5, s4
	s_cbranch_execz .LBB5_987
; %bb.1060:                             ;   in Loop: Header=BB5_988 Depth=1
	s_clause 0x2
	global_load_dwordx2 v[2:3], v10, s[26:27] offset:40
	global_load_dwordx2 v[8:9], v10, s[26:27] offset:24 glc dlc
	global_load_dwordx2 v[15:16], v10, s[26:27]
	s_waitcnt vmcnt(2)
	v_add_co_u32 v17, vcc_lo, v2, 1
	v_add_co_ci_u32_e32 v18, vcc_lo, 0, v3, vcc_lo
	v_add_co_u32 v13, vcc_lo, v17, s18
	v_add_co_ci_u32_e32 v14, vcc_lo, s19, v18, vcc_lo
	v_cmp_eq_u64_e32 vcc_lo, 0, v[13:14]
	v_cndmask_b32_e32 v14, v14, v18, vcc_lo
	v_cndmask_b32_e32 v13, v13, v17, vcc_lo
	v_and_b32_e32 v3, v14, v3
	v_and_b32_e32 v2, v13, v2
	v_mul_lo_u32 v3, v3, 24
	v_mul_hi_u32 v17, v2, 24
	v_mul_lo_u32 v2, v2, 24
	v_add_nc_u32_e32 v3, v17, v3
	s_waitcnt vmcnt(0)
	v_add_co_u32 v2, vcc_lo, v15, v2
	v_mov_b32_e32 v15, v8
	v_add_co_ci_u32_e32 v3, vcc_lo, v16, v3, vcc_lo
	v_mov_b32_e32 v16, v9
	global_store_dwordx2 v[2:3], v[8:9], off
	s_waitcnt_vscnt null, 0x0
	global_atomic_cmpswap_x2 v[15:16], v10, v[13:16], s[26:27] offset:24 glc
	s_waitcnt vmcnt(0)
	v_cmp_ne_u64_e32 vcc_lo, v[15:16], v[8:9]
	s_and_b32 exec_lo, exec_lo, vcc_lo
	s_cbranch_execz .LBB5_987
; %bb.1061:                             ;   in Loop: Header=BB5_988 Depth=1
	s_mov_b32 s4, 0
.LBB5_1062:                             ;   Parent Loop BB5_988 Depth=1
                                        ; =>  This Inner Loop Header: Depth=2
	s_sleep 1
	global_store_dwordx2 v[2:3], v[15:16], off
	s_waitcnt_vscnt null, 0x0
	global_atomic_cmpswap_x2 v[8:9], v10, v[13:16], s[26:27] offset:24 glc
	s_waitcnt vmcnt(0)
	v_cmp_eq_u64_e32 vcc_lo, v[8:9], v[15:16]
	v_mov_b32_e32 v16, v9
	v_mov_b32_e32 v15, v8
	s_or_b32 s4, vcc_lo, s4
	s_andn2_b32 exec_lo, exec_lo, s4
	s_cbranch_execnz .LBB5_1062
	s_branch .LBB5_987
.LBB5_1063:
	s_branch .LBB5_1092
.LBB5_1064:
                                        ; implicit-def: $vgpr6_vgpr7
	s_cbranch_execz .LBB5_1092
; %bb.1065:
	v_readfirstlane_b32 s4, v49
	v_mov_b32_e32 v10, 0
	v_mov_b32_e32 v11, 0
	v_cmp_eq_u32_e64 s4, s4, v49
	s_and_saveexec_b32 s5, s4
	s_cbranch_execz .LBB5_1071
; %bb.1066:
	v_mov_b32_e32 v2, 0
	s_mov_b32 s6, exec_lo
	global_load_dwordx2 v[8:9], v2, s[26:27] offset:24 glc dlc
	s_waitcnt vmcnt(0)
	buffer_gl1_inv
	buffer_gl0_inv
	s_clause 0x1
	global_load_dwordx2 v[6:7], v2, s[26:27] offset:40
	global_load_dwordx2 v[10:11], v2, s[26:27]
	s_waitcnt vmcnt(1)
	v_and_b32_e32 v3, v7, v9
	v_and_b32_e32 v6, v6, v8
	v_mul_lo_u32 v3, v3, 24
	v_mul_hi_u32 v7, v6, 24
	v_mul_lo_u32 v6, v6, 24
	v_add_nc_u32_e32 v3, v7, v3
	s_waitcnt vmcnt(0)
	v_add_co_u32 v6, vcc_lo, v10, v6
	v_add_co_ci_u32_e32 v7, vcc_lo, v11, v3, vcc_lo
	global_load_dwordx2 v[6:7], v[6:7], off glc dlc
	s_waitcnt vmcnt(0)
	global_atomic_cmpswap_x2 v[10:11], v2, v[6:9], s[26:27] offset:24 glc
	s_waitcnt vmcnt(0)
	buffer_gl1_inv
	buffer_gl0_inv
	v_cmpx_ne_u64_e64 v[10:11], v[8:9]
	s_cbranch_execz .LBB5_1070
; %bb.1067:
	s_mov_b32 s7, 0
	.p2align	6
.LBB5_1068:                             ; =>This Inner Loop Header: Depth=1
	s_sleep 1
	s_clause 0x1
	global_load_dwordx2 v[6:7], v2, s[26:27] offset:40
	global_load_dwordx2 v[12:13], v2, s[26:27]
	v_mov_b32_e32 v8, v10
	v_mov_b32_e32 v9, v11
	s_waitcnt vmcnt(1)
	v_and_b32_e32 v3, v6, v8
	v_and_b32_e32 v6, v7, v9
	s_waitcnt vmcnt(0)
	v_mad_u64_u32 v[10:11], null, v3, 24, v[12:13]
	v_mov_b32_e32 v3, v11
	v_mad_u64_u32 v[6:7], null, v6, 24, v[3:4]
	v_mov_b32_e32 v11, v6
	global_load_dwordx2 v[6:7], v[10:11], off glc dlc
	s_waitcnt vmcnt(0)
	global_atomic_cmpswap_x2 v[10:11], v2, v[6:9], s[26:27] offset:24 glc
	s_waitcnt vmcnt(0)
	buffer_gl1_inv
	buffer_gl0_inv
	v_cmp_eq_u64_e32 vcc_lo, v[10:11], v[8:9]
	s_or_b32 s7, vcc_lo, s7
	s_andn2_b32 exec_lo, exec_lo, s7
	s_cbranch_execnz .LBB5_1068
; %bb.1069:
	s_or_b32 exec_lo, exec_lo, s7
.LBB5_1070:
	s_or_b32 exec_lo, exec_lo, s6
.LBB5_1071:
	s_or_b32 exec_lo, exec_lo, s5
	v_mov_b32_e32 v2, 0
	v_readfirstlane_b32 s6, v10
	v_readfirstlane_b32 s7, v11
	s_mov_b32 s5, exec_lo
	s_clause 0x1
	global_load_dwordx2 v[12:13], v2, s[26:27] offset:40
	global_load_dwordx4 v[6:9], v2, s[26:27]
	s_waitcnt vmcnt(1)
	v_readfirstlane_b32 s10, v12
	v_readfirstlane_b32 s11, v13
	s_and_b64 s[10:11], s[6:7], s[10:11]
	s_mul_i32 s16, s11, 24
	s_mul_hi_u32 s17, s10, 24
	s_mul_i32 s18, s10, 24
	s_add_i32 s17, s17, s16
	s_waitcnt vmcnt(0)
	v_add_co_u32 v10, vcc_lo, v6, s18
	v_add_co_ci_u32_e32 v11, vcc_lo, s17, v7, vcc_lo
	s_and_saveexec_b32 s16, s4
	s_cbranch_execz .LBB5_1073
; %bb.1072:
	v_mov_b32_e32 v12, s5
	v_mov_b32_e32 v13, v2
	;; [unrolled: 1-line block ×4, first 2 shown]
	global_store_dwordx4 v[10:11], v[12:15], off offset:8
.LBB5_1073:
	s_or_b32 exec_lo, exec_lo, s16
	s_lshl_b64 s[10:11], s[10:11], 12
	s_mov_b32 s16, 0
	v_add_co_u32 v8, vcc_lo, v8, s10
	v_add_co_ci_u32_e32 v9, vcc_lo, s11, v9, vcc_lo
	s_mov_b32 s17, s16
	v_readfirstlane_b32 s10, v8
	v_add_co_u32 v8, vcc_lo, v8, v48
	s_mov_b32 s18, s16
	s_mov_b32 s19, s16
	v_and_or_b32 v0, 0xffffff1f, v0, 32
	v_mov_b32_e32 v3, v2
	v_readfirstlane_b32 s11, v9
	v_mov_b32_e32 v12, s16
	v_add_co_ci_u32_e32 v9, vcc_lo, 0, v9, vcc_lo
	v_mov_b32_e32 v13, s17
	v_mov_b32_e32 v14, s18
	v_mov_b32_e32 v15, s19
	global_store_dwordx4 v48, v[0:3], s[10:11]
	global_store_dwordx4 v48, v[12:15], s[10:11] offset:16
	global_store_dwordx4 v48, v[12:15], s[10:11] offset:32
	;; [unrolled: 1-line block ×3, first 2 shown]
	s_and_saveexec_b32 s5, s4
	s_cbranch_execz .LBB5_1081
; %bb.1074:
	v_mov_b32_e32 v12, 0
	v_mov_b32_e32 v13, s6
	;; [unrolled: 1-line block ×3, first 2 shown]
	s_clause 0x1
	global_load_dwordx2 v[15:16], v12, s[26:27] offset:32 glc dlc
	global_load_dwordx2 v[0:1], v12, s[26:27] offset:40
	s_waitcnt vmcnt(0)
	v_readfirstlane_b32 s10, v0
	v_readfirstlane_b32 s11, v1
	s_and_b64 s[10:11], s[10:11], s[6:7]
	s_mul_i32 s11, s11, 24
	s_mul_hi_u32 s16, s10, 24
	s_mul_i32 s10, s10, 24
	s_add_i32 s16, s16, s11
	v_add_co_u32 v6, vcc_lo, v6, s10
	v_add_co_ci_u32_e32 v7, vcc_lo, s16, v7, vcc_lo
	s_mov_b32 s10, exec_lo
	global_store_dwordx2 v[6:7], v[15:16], off
	s_waitcnt_vscnt null, 0x0
	global_atomic_cmpswap_x2 v[2:3], v12, v[13:16], s[26:27] offset:32 glc
	s_waitcnt vmcnt(0)
	v_cmpx_ne_u64_e64 v[2:3], v[15:16]
	s_cbranch_execz .LBB5_1077
; %bb.1075:
	s_mov_b32 s11, 0
.LBB5_1076:                             ; =>This Inner Loop Header: Depth=1
	v_mov_b32_e32 v0, s6
	v_mov_b32_e32 v1, s7
	s_sleep 1
	global_store_dwordx2 v[6:7], v[2:3], off
	s_waitcnt_vscnt null, 0x0
	global_atomic_cmpswap_x2 v[0:1], v12, v[0:3], s[26:27] offset:32 glc
	s_waitcnt vmcnt(0)
	v_cmp_eq_u64_e32 vcc_lo, v[0:1], v[2:3]
	v_mov_b32_e32 v3, v1
	v_mov_b32_e32 v2, v0
	s_or_b32 s11, vcc_lo, s11
	s_andn2_b32 exec_lo, exec_lo, s11
	s_cbranch_execnz .LBB5_1076
.LBB5_1077:
	s_or_b32 exec_lo, exec_lo, s10
	v_mov_b32_e32 v3, 0
	s_mov_b32 s11, exec_lo
	s_mov_b32 s10, exec_lo
	v_mbcnt_lo_u32_b32 v2, s11, 0
	global_load_dwordx2 v[0:1], v3, s[26:27] offset:16
	v_cmpx_eq_u32_e32 0, v2
	s_cbranch_execz .LBB5_1079
; %bb.1078:
	s_bcnt1_i32_b32 s11, s11
	v_mov_b32_e32 v2, s11
	s_waitcnt vmcnt(0)
	global_atomic_add_x2 v[0:1], v[2:3], off offset:8
.LBB5_1079:
	s_or_b32 exec_lo, exec_lo, s10
	s_waitcnt vmcnt(0)
	global_load_dwordx2 v[2:3], v[0:1], off offset:16
	s_waitcnt vmcnt(0)
	v_cmp_eq_u64_e32 vcc_lo, 0, v[2:3]
	s_cbranch_vccnz .LBB5_1081
; %bb.1080:
	global_load_dword v0, v[0:1], off offset:24
	v_mov_b32_e32 v1, 0
	s_waitcnt vmcnt(0)
	v_and_b32_e32 v6, 0x7fffff, v0
	s_waitcnt_vscnt null, 0x0
	global_store_dwordx2 v[2:3], v[0:1], off
	v_readfirstlane_b32 m0, v6
	s_sendmsg sendmsg(MSG_INTERRUPT)
.LBB5_1081:
	s_or_b32 exec_lo, exec_lo, s5
	s_branch .LBB5_1085
	.p2align	6
.LBB5_1082:                             ;   in Loop: Header=BB5_1085 Depth=1
	s_or_b32 exec_lo, exec_lo, s5
	v_readfirstlane_b32 s5, v0
	s_cmp_eq_u32 s5, 0
	s_cbranch_scc1 .LBB5_1084
; %bb.1083:                             ;   in Loop: Header=BB5_1085 Depth=1
	s_sleep 1
	s_cbranch_execnz .LBB5_1085
	s_branch .LBB5_1087
	.p2align	6
.LBB5_1084:
	s_branch .LBB5_1087
.LBB5_1085:                             ; =>This Inner Loop Header: Depth=1
	v_mov_b32_e32 v0, 1
	s_and_saveexec_b32 s5, s4
	s_cbranch_execz .LBB5_1082
; %bb.1086:                             ;   in Loop: Header=BB5_1085 Depth=1
	global_load_dword v0, v[10:11], off offset:20 glc dlc
	s_waitcnt vmcnt(0)
	buffer_gl1_inv
	buffer_gl0_inv
	v_and_b32_e32 v0, 1, v0
	s_branch .LBB5_1082
.LBB5_1087:
	global_load_dwordx2 v[6:7], v[8:9], off
	s_and_saveexec_b32 s5, s4
	s_cbranch_execz .LBB5_1091
; %bb.1088:
	v_mov_b32_e32 v10, 0
	s_clause 0x2
	global_load_dwordx2 v[2:3], v10, s[26:27] offset:40
	global_load_dwordx2 v[11:12], v10, s[26:27] offset:24 glc dlc
	global_load_dwordx2 v[8:9], v10, s[26:27]
	s_waitcnt vmcnt(2)
	v_add_co_u32 v13, vcc_lo, v2, 1
	v_add_co_ci_u32_e32 v14, vcc_lo, 0, v3, vcc_lo
	v_add_co_u32 v0, vcc_lo, v13, s6
	v_add_co_ci_u32_e32 v1, vcc_lo, s7, v14, vcc_lo
	v_cmp_eq_u64_e32 vcc_lo, 0, v[0:1]
	v_cndmask_b32_e32 v1, v1, v14, vcc_lo
	v_cndmask_b32_e32 v0, v0, v13, vcc_lo
	v_and_b32_e32 v3, v1, v3
	v_and_b32_e32 v2, v0, v2
	v_mul_lo_u32 v3, v3, 24
	v_mul_hi_u32 v13, v2, 24
	v_mul_lo_u32 v2, v2, 24
	v_add_nc_u32_e32 v3, v13, v3
	s_waitcnt vmcnt(0)
	v_add_co_u32 v8, vcc_lo, v8, v2
	v_mov_b32_e32 v2, v11
	v_add_co_ci_u32_e32 v9, vcc_lo, v9, v3, vcc_lo
	v_mov_b32_e32 v3, v12
	global_store_dwordx2 v[8:9], v[11:12], off
	s_waitcnt_vscnt null, 0x0
	global_atomic_cmpswap_x2 v[2:3], v10, v[0:3], s[26:27] offset:24 glc
	s_waitcnt vmcnt(0)
	v_cmp_ne_u64_e32 vcc_lo, v[2:3], v[11:12]
	s_and_b32 exec_lo, exec_lo, vcc_lo
	s_cbranch_execz .LBB5_1091
; %bb.1089:
	s_mov_b32 s4, 0
.LBB5_1090:                             ; =>This Inner Loop Header: Depth=1
	s_sleep 1
	global_store_dwordx2 v[8:9], v[2:3], off
	s_waitcnt_vscnt null, 0x0
	global_atomic_cmpswap_x2 v[11:12], v10, v[0:3], s[26:27] offset:24 glc
	s_waitcnt vmcnt(0)
	v_cmp_eq_u64_e32 vcc_lo, v[11:12], v[2:3]
	v_mov_b32_e32 v2, v11
	v_mov_b32_e32 v3, v12
	s_or_b32 s4, vcc_lo, s4
	s_andn2_b32 exec_lo, exec_lo, s4
	s_cbranch_execnz .LBB5_1090
.LBB5_1091:
	s_or_b32 exec_lo, exec_lo, s5
.LBB5_1092:
	v_readfirstlane_b32 s4, v49
	v_mov_b32_e32 v10, 0
	v_mov_b32_e32 v11, 0
	v_cmp_eq_u32_e64 s4, s4, v49
	s_and_saveexec_b32 s5, s4
	s_cbranch_execz .LBB5_1098
; %bb.1093:
	s_waitcnt vmcnt(0)
	v_mov_b32_e32 v0, 0
	s_mov_b32 s6, exec_lo
	global_load_dwordx2 v[12:13], v0, s[26:27] offset:24 glc dlc
	s_waitcnt vmcnt(0)
	buffer_gl1_inv
	buffer_gl0_inv
	s_clause 0x1
	global_load_dwordx2 v[1:2], v0, s[26:27] offset:40
	global_load_dwordx2 v[8:9], v0, s[26:27]
	s_waitcnt vmcnt(1)
	v_and_b32_e32 v2, v2, v13
	v_and_b32_e32 v1, v1, v12
	v_mul_lo_u32 v2, v2, 24
	v_mul_hi_u32 v3, v1, 24
	v_mul_lo_u32 v1, v1, 24
	v_add_nc_u32_e32 v2, v3, v2
	s_waitcnt vmcnt(0)
	v_add_co_u32 v1, vcc_lo, v8, v1
	v_add_co_ci_u32_e32 v2, vcc_lo, v9, v2, vcc_lo
	global_load_dwordx2 v[10:11], v[1:2], off glc dlc
	s_waitcnt vmcnt(0)
	global_atomic_cmpswap_x2 v[10:11], v0, v[10:13], s[26:27] offset:24 glc
	s_waitcnt vmcnt(0)
	buffer_gl1_inv
	buffer_gl0_inv
	v_cmpx_ne_u64_e64 v[10:11], v[12:13]
	s_cbranch_execz .LBB5_1097
; %bb.1094:
	s_mov_b32 s7, 0
	.p2align	6
.LBB5_1095:                             ; =>This Inner Loop Header: Depth=1
	s_sleep 1
	s_clause 0x1
	global_load_dwordx2 v[1:2], v0, s[26:27] offset:40
	global_load_dwordx2 v[8:9], v0, s[26:27]
	v_mov_b32_e32 v13, v11
	v_mov_b32_e32 v12, v10
	s_waitcnt vmcnt(1)
	v_and_b32_e32 v1, v1, v12
	v_and_b32_e32 v2, v2, v13
	s_waitcnt vmcnt(0)
	v_mad_u64_u32 v[8:9], null, v1, 24, v[8:9]
	v_mov_b32_e32 v1, v9
	v_mad_u64_u32 v[1:2], null, v2, 24, v[1:2]
	v_mov_b32_e32 v9, v1
	global_load_dwordx2 v[10:11], v[8:9], off glc dlc
	s_waitcnt vmcnt(0)
	global_atomic_cmpswap_x2 v[10:11], v0, v[10:13], s[26:27] offset:24 glc
	s_waitcnt vmcnt(0)
	buffer_gl1_inv
	buffer_gl0_inv
	v_cmp_eq_u64_e32 vcc_lo, v[10:11], v[12:13]
	s_or_b32 s7, vcc_lo, s7
	s_andn2_b32 exec_lo, exec_lo, s7
	s_cbranch_execnz .LBB5_1095
; %bb.1096:
	s_or_b32 exec_lo, exec_lo, s7
.LBB5_1097:
	s_or_b32 exec_lo, exec_lo, s6
.LBB5_1098:
	s_or_b32 exec_lo, exec_lo, s5
	s_waitcnt vmcnt(0)
	v_mov_b32_e32 v9, 0
	v_readfirstlane_b32 s6, v10
	v_readfirstlane_b32 s7, v11
	s_mov_b32 s5, exec_lo
	s_clause 0x1
	global_load_dwordx2 v[12:13], v9, s[26:27] offset:40
	global_load_dwordx4 v[0:3], v9, s[26:27]
	s_waitcnt vmcnt(1)
	v_readfirstlane_b32 s10, v12
	v_readfirstlane_b32 s11, v13
	s_and_b64 s[10:11], s[6:7], s[10:11]
	s_mul_i32 s16, s11, 24
	s_mul_hi_u32 s17, s10, 24
	s_mul_i32 s18, s10, 24
	s_add_i32 s17, s17, s16
	s_waitcnt vmcnt(0)
	v_add_co_u32 v10, vcc_lo, v0, s18
	v_add_co_ci_u32_e32 v11, vcc_lo, s17, v1, vcc_lo
	s_and_saveexec_b32 s16, s4
	s_cbranch_execz .LBB5_1100
; %bb.1099:
	v_mov_b32_e32 v8, s5
	v_mov_b32_e32 v13, v9
	;; [unrolled: 1-line block ×5, first 2 shown]
	global_store_dwordx4 v[10:11], v[12:15], off offset:8
.LBB5_1100:
	s_or_b32 exec_lo, exec_lo, s16
	s_lshl_b64 s[10:11], s[10:11], 12
	s_mov_b32 s16, 0
	v_add_co_u32 v2, vcc_lo, v2, s10
	v_add_co_ci_u32_e32 v3, vcc_lo, s11, v3, vcc_lo
	s_mov_b32 s17, s16
	s_mov_b32 s18, s16
	;; [unrolled: 1-line block ×3, first 2 shown]
	v_and_or_b32 v6, 0xffffff1d, v6, 34
	v_mov_b32_e32 v8, 58
	v_readfirstlane_b32 s10, v2
	v_readfirstlane_b32 s11, v3
	v_mov_b32_e32 v12, s16
	v_mov_b32_e32 v13, s17
	;; [unrolled: 1-line block ×4, first 2 shown]
	global_store_dwordx4 v48, v[6:9], s[10:11]
	global_store_dwordx4 v48, v[12:15], s[10:11] offset:16
	global_store_dwordx4 v48, v[12:15], s[10:11] offset:32
	;; [unrolled: 1-line block ×3, first 2 shown]
	s_and_saveexec_b32 s5, s4
	s_cbranch_execz .LBB5_1108
; %bb.1101:
	v_mov_b32_e32 v8, 0
	v_mov_b32_e32 v12, s6
	;; [unrolled: 1-line block ×3, first 2 shown]
	s_clause 0x1
	global_load_dwordx2 v[14:15], v8, s[26:27] offset:32 glc dlc
	global_load_dwordx2 v[2:3], v8, s[26:27] offset:40
	s_waitcnt vmcnt(0)
	v_readfirstlane_b32 s10, v2
	v_readfirstlane_b32 s11, v3
	s_and_b64 s[10:11], s[10:11], s[6:7]
	s_mul_i32 s11, s11, 24
	s_mul_hi_u32 s16, s10, 24
	s_mul_i32 s10, s10, 24
	s_add_i32 s16, s16, s11
	v_add_co_u32 v6, vcc_lo, v0, s10
	v_add_co_ci_u32_e32 v7, vcc_lo, s16, v1, vcc_lo
	s_mov_b32 s10, exec_lo
	global_store_dwordx2 v[6:7], v[14:15], off
	s_waitcnt_vscnt null, 0x0
	global_atomic_cmpswap_x2 v[2:3], v8, v[12:15], s[26:27] offset:32 glc
	s_waitcnt vmcnt(0)
	v_cmpx_ne_u64_e64 v[2:3], v[14:15]
	s_cbranch_execz .LBB5_1104
; %bb.1102:
	s_mov_b32 s11, 0
.LBB5_1103:                             ; =>This Inner Loop Header: Depth=1
	v_mov_b32_e32 v0, s6
	v_mov_b32_e32 v1, s7
	s_sleep 1
	global_store_dwordx2 v[6:7], v[2:3], off
	s_waitcnt_vscnt null, 0x0
	global_atomic_cmpswap_x2 v[0:1], v8, v[0:3], s[26:27] offset:32 glc
	s_waitcnt vmcnt(0)
	v_cmp_eq_u64_e32 vcc_lo, v[0:1], v[2:3]
	v_mov_b32_e32 v3, v1
	v_mov_b32_e32 v2, v0
	s_or_b32 s11, vcc_lo, s11
	s_andn2_b32 exec_lo, exec_lo, s11
	s_cbranch_execnz .LBB5_1103
.LBB5_1104:
	s_or_b32 exec_lo, exec_lo, s10
	v_mov_b32_e32 v3, 0
	s_mov_b32 s11, exec_lo
	s_mov_b32 s10, exec_lo
	v_mbcnt_lo_u32_b32 v2, s11, 0
	global_load_dwordx2 v[0:1], v3, s[26:27] offset:16
	v_cmpx_eq_u32_e32 0, v2
	s_cbranch_execz .LBB5_1106
; %bb.1105:
	s_bcnt1_i32_b32 s11, s11
	v_mov_b32_e32 v2, s11
	s_waitcnt vmcnt(0)
	global_atomic_add_x2 v[0:1], v[2:3], off offset:8
.LBB5_1106:
	s_or_b32 exec_lo, exec_lo, s10
	s_waitcnt vmcnt(0)
	global_load_dwordx2 v[2:3], v[0:1], off offset:16
	s_waitcnt vmcnt(0)
	v_cmp_eq_u64_e32 vcc_lo, 0, v[2:3]
	s_cbranch_vccnz .LBB5_1108
; %bb.1107:
	global_load_dword v0, v[0:1], off offset:24
	v_mov_b32_e32 v1, 0
	s_waitcnt vmcnt(0)
	v_and_b32_e32 v6, 0x7fffff, v0
	s_waitcnt_vscnt null, 0x0
	global_store_dwordx2 v[2:3], v[0:1], off
	v_readfirstlane_b32 m0, v6
	s_sendmsg sendmsg(MSG_INTERRUPT)
.LBB5_1108:
	s_or_b32 exec_lo, exec_lo, s5
	s_branch .LBB5_1112
	.p2align	6
.LBB5_1109:                             ;   in Loop: Header=BB5_1112 Depth=1
	s_or_b32 exec_lo, exec_lo, s5
	v_readfirstlane_b32 s5, v0
	s_cmp_eq_u32 s5, 0
	s_cbranch_scc1 .LBB5_1111
; %bb.1110:                             ;   in Loop: Header=BB5_1112 Depth=1
	s_sleep 1
	s_cbranch_execnz .LBB5_1112
	s_branch .LBB5_1114
	.p2align	6
.LBB5_1111:
	s_branch .LBB5_1114
.LBB5_1112:                             ; =>This Inner Loop Header: Depth=1
	v_mov_b32_e32 v0, 1
	s_and_saveexec_b32 s5, s4
	s_cbranch_execz .LBB5_1109
; %bb.1113:                             ;   in Loop: Header=BB5_1112 Depth=1
	global_load_dword v0, v[10:11], off offset:20 glc dlc
	s_waitcnt vmcnt(0)
	buffer_gl1_inv
	buffer_gl0_inv
	v_and_b32_e32 v0, 1, v0
	s_branch .LBB5_1109
.LBB5_1114:
	s_and_saveexec_b32 s5, s4
	s_cbranch_execz .LBB5_1118
; %bb.1115:
	v_mov_b32_e32 v8, 0
	s_clause 0x2
	global_load_dwordx2 v[2:3], v8, s[26:27] offset:40
	global_load_dwordx2 v[9:10], v8, s[26:27] offset:24 glc dlc
	global_load_dwordx2 v[6:7], v8, s[26:27]
	s_waitcnt vmcnt(2)
	v_add_co_u32 v11, vcc_lo, v2, 1
	v_add_co_ci_u32_e32 v12, vcc_lo, 0, v3, vcc_lo
	v_add_co_u32 v0, vcc_lo, v11, s6
	v_add_co_ci_u32_e32 v1, vcc_lo, s7, v12, vcc_lo
	v_cmp_eq_u64_e32 vcc_lo, 0, v[0:1]
	v_cndmask_b32_e32 v1, v1, v12, vcc_lo
	v_cndmask_b32_e32 v0, v0, v11, vcc_lo
	v_and_b32_e32 v3, v1, v3
	v_and_b32_e32 v2, v0, v2
	v_mul_lo_u32 v3, v3, 24
	v_mul_hi_u32 v11, v2, 24
	v_mul_lo_u32 v2, v2, 24
	v_add_nc_u32_e32 v3, v11, v3
	s_waitcnt vmcnt(0)
	v_add_co_u32 v6, vcc_lo, v6, v2
	v_mov_b32_e32 v2, v9
	v_add_co_ci_u32_e32 v7, vcc_lo, v7, v3, vcc_lo
	v_mov_b32_e32 v3, v10
	global_store_dwordx2 v[6:7], v[9:10], off
	s_waitcnt_vscnt null, 0x0
	global_atomic_cmpswap_x2 v[2:3], v8, v[0:3], s[26:27] offset:24 glc
	s_waitcnt vmcnt(0)
	v_cmp_ne_u64_e32 vcc_lo, v[2:3], v[9:10]
	s_and_b32 exec_lo, exec_lo, vcc_lo
	s_cbranch_execz .LBB5_1118
; %bb.1116:
	s_mov_b32 s4, 0
.LBB5_1117:                             ; =>This Inner Loop Header: Depth=1
	s_sleep 1
	global_store_dwordx2 v[6:7], v[2:3], off
	s_waitcnt_vscnt null, 0x0
	global_atomic_cmpswap_x2 v[9:10], v8, v[0:3], s[26:27] offset:24 glc
	s_waitcnt vmcnt(0)
	v_cmp_eq_u64_e32 vcc_lo, v[9:10], v[2:3]
	v_mov_b32_e32 v2, v9
	v_mov_b32_e32 v3, v10
	s_or_b32 s4, vcc_lo, s4
	s_andn2_b32 exec_lo, exec_lo, s4
	s_cbranch_execnz .LBB5_1117
.LBB5_1118:
	s_or_b32 exec_lo, exec_lo, s5
	v_readfirstlane_b32 s4, v49
	v_mov_b32_e32 v8, 0
	v_mov_b32_e32 v9, 0
	v_cmp_eq_u32_e64 s4, s4, v49
	s_and_saveexec_b32 s5, s4
	s_cbranch_execz .LBB5_1124
; %bb.1119:
	v_mov_b32_e32 v0, 0
	s_mov_b32 s6, exec_lo
	global_load_dwordx2 v[10:11], v0, s[26:27] offset:24 glc dlc
	s_waitcnt vmcnt(0)
	buffer_gl1_inv
	buffer_gl0_inv
	s_clause 0x1
	global_load_dwordx2 v[1:2], v0, s[26:27] offset:40
	global_load_dwordx2 v[6:7], v0, s[26:27]
	s_waitcnt vmcnt(1)
	v_and_b32_e32 v2, v2, v11
	v_and_b32_e32 v1, v1, v10
	v_mul_lo_u32 v2, v2, 24
	v_mul_hi_u32 v3, v1, 24
	v_mul_lo_u32 v1, v1, 24
	v_add_nc_u32_e32 v2, v3, v2
	s_waitcnt vmcnt(0)
	v_add_co_u32 v1, vcc_lo, v6, v1
	v_add_co_ci_u32_e32 v2, vcc_lo, v7, v2, vcc_lo
	global_load_dwordx2 v[8:9], v[1:2], off glc dlc
	s_waitcnt vmcnt(0)
	global_atomic_cmpswap_x2 v[8:9], v0, v[8:11], s[26:27] offset:24 glc
	s_waitcnt vmcnt(0)
	buffer_gl1_inv
	buffer_gl0_inv
	v_cmpx_ne_u64_e64 v[8:9], v[10:11]
	s_cbranch_execz .LBB5_1123
; %bb.1120:
	s_mov_b32 s7, 0
	.p2align	6
.LBB5_1121:                             ; =>This Inner Loop Header: Depth=1
	s_sleep 1
	s_clause 0x1
	global_load_dwordx2 v[1:2], v0, s[26:27] offset:40
	global_load_dwordx2 v[6:7], v0, s[26:27]
	v_mov_b32_e32 v11, v9
	v_mov_b32_e32 v10, v8
	s_waitcnt vmcnt(1)
	v_and_b32_e32 v1, v1, v10
	v_and_b32_e32 v2, v2, v11
	s_waitcnt vmcnt(0)
	v_mad_u64_u32 v[6:7], null, v1, 24, v[6:7]
	v_mov_b32_e32 v1, v7
	v_mad_u64_u32 v[1:2], null, v2, 24, v[1:2]
	v_mov_b32_e32 v7, v1
	global_load_dwordx2 v[8:9], v[6:7], off glc dlc
	s_waitcnt vmcnt(0)
	global_atomic_cmpswap_x2 v[8:9], v0, v[8:11], s[26:27] offset:24 glc
	s_waitcnt vmcnt(0)
	buffer_gl1_inv
	buffer_gl0_inv
	v_cmp_eq_u64_e32 vcc_lo, v[8:9], v[10:11]
	s_or_b32 s7, vcc_lo, s7
	s_andn2_b32 exec_lo, exec_lo, s7
	s_cbranch_execnz .LBB5_1121
; %bb.1122:
	s_or_b32 exec_lo, exec_lo, s7
.LBB5_1123:
	s_or_b32 exec_lo, exec_lo, s6
.LBB5_1124:
	s_or_b32 exec_lo, exec_lo, s5
	v_mov_b32_e32 v7, 0
	v_readfirstlane_b32 s6, v8
	v_readfirstlane_b32 s7, v9
	s_mov_b32 s5, exec_lo
	s_clause 0x1
	global_load_dwordx2 v[10:11], v7, s[26:27] offset:40
	global_load_dwordx4 v[0:3], v7, s[26:27]
	s_waitcnt vmcnt(1)
	v_readfirstlane_b32 s10, v10
	v_readfirstlane_b32 s11, v11
	s_and_b64 s[10:11], s[6:7], s[10:11]
	s_mul_i32 s16, s11, 24
	s_mul_hi_u32 s17, s10, 24
	s_mul_i32 s18, s10, 24
	s_add_i32 s17, s17, s16
	s_waitcnt vmcnt(0)
	v_add_co_u32 v10, vcc_lo, v0, s18
	v_add_co_ci_u32_e32 v11, vcc_lo, s17, v1, vcc_lo
	s_and_saveexec_b32 s16, s4
	s_cbranch_execz .LBB5_1126
; %bb.1125:
	v_mov_b32_e32 v6, s5
	v_mov_b32_e32 v8, 2
	v_mov_b32_e32 v9, 1
	global_store_dwordx4 v[10:11], v[6:9], off offset:8
.LBB5_1126:
	s_or_b32 exec_lo, exec_lo, s16
	s_lshl_b64 s[10:11], s[10:11], 12
	s_mov_b32 s16, 0
	v_add_co_u32 v2, vcc_lo, v2, s10
	v_add_co_ci_u32_e32 v3, vcc_lo, s11, v3, vcc_lo
	s_mov_b32 s17, s16
	v_add_co_u32 v12, vcc_lo, v2, v48
	s_mov_b32 s18, s16
	s_mov_b32 s19, s16
	v_mov_b32_e32 v6, 33
	v_mov_b32_e32 v8, v7
	;; [unrolled: 1-line block ×3, first 2 shown]
	v_readfirstlane_b32 s10, v2
	v_readfirstlane_b32 s11, v3
	v_mov_b32_e32 v14, s16
	v_add_co_ci_u32_e32 v13, vcc_lo, 0, v3, vcc_lo
	v_mov_b32_e32 v15, s17
	v_mov_b32_e32 v16, s18
	;; [unrolled: 1-line block ×3, first 2 shown]
	global_store_dwordx4 v48, v[6:9], s[10:11]
	global_store_dwordx4 v48, v[14:17], s[10:11] offset:16
	global_store_dwordx4 v48, v[14:17], s[10:11] offset:32
	;; [unrolled: 1-line block ×3, first 2 shown]
	s_and_saveexec_b32 s5, s4
	s_cbranch_execz .LBB5_1134
; %bb.1127:
	v_mov_b32_e32 v8, 0
	v_mov_b32_e32 v14, s6
	;; [unrolled: 1-line block ×3, first 2 shown]
	s_clause 0x1
	global_load_dwordx2 v[16:17], v8, s[26:27] offset:32 glc dlc
	global_load_dwordx2 v[2:3], v8, s[26:27] offset:40
	s_waitcnt vmcnt(0)
	v_readfirstlane_b32 s10, v2
	v_readfirstlane_b32 s11, v3
	s_and_b64 s[10:11], s[10:11], s[6:7]
	s_mul_i32 s11, s11, 24
	s_mul_hi_u32 s16, s10, 24
	s_mul_i32 s10, s10, 24
	s_add_i32 s16, s16, s11
	v_add_co_u32 v6, vcc_lo, v0, s10
	v_add_co_ci_u32_e32 v7, vcc_lo, s16, v1, vcc_lo
	s_mov_b32 s10, exec_lo
	global_store_dwordx2 v[6:7], v[16:17], off
	s_waitcnt_vscnt null, 0x0
	global_atomic_cmpswap_x2 v[2:3], v8, v[14:17], s[26:27] offset:32 glc
	s_waitcnt vmcnt(0)
	v_cmpx_ne_u64_e64 v[2:3], v[16:17]
	s_cbranch_execz .LBB5_1130
; %bb.1128:
	s_mov_b32 s11, 0
.LBB5_1129:                             ; =>This Inner Loop Header: Depth=1
	v_mov_b32_e32 v0, s6
	v_mov_b32_e32 v1, s7
	s_sleep 1
	global_store_dwordx2 v[6:7], v[2:3], off
	s_waitcnt_vscnt null, 0x0
	global_atomic_cmpswap_x2 v[0:1], v8, v[0:3], s[26:27] offset:32 glc
	s_waitcnt vmcnt(0)
	v_cmp_eq_u64_e32 vcc_lo, v[0:1], v[2:3]
	v_mov_b32_e32 v3, v1
	v_mov_b32_e32 v2, v0
	s_or_b32 s11, vcc_lo, s11
	s_andn2_b32 exec_lo, exec_lo, s11
	s_cbranch_execnz .LBB5_1129
.LBB5_1130:
	s_or_b32 exec_lo, exec_lo, s10
	v_mov_b32_e32 v3, 0
	s_mov_b32 s11, exec_lo
	s_mov_b32 s10, exec_lo
	v_mbcnt_lo_u32_b32 v2, s11, 0
	global_load_dwordx2 v[0:1], v3, s[26:27] offset:16
	v_cmpx_eq_u32_e32 0, v2
	s_cbranch_execz .LBB5_1132
; %bb.1131:
	s_bcnt1_i32_b32 s11, s11
	v_mov_b32_e32 v2, s11
	s_waitcnt vmcnt(0)
	global_atomic_add_x2 v[0:1], v[2:3], off offset:8
.LBB5_1132:
	s_or_b32 exec_lo, exec_lo, s10
	s_waitcnt vmcnt(0)
	global_load_dwordx2 v[2:3], v[0:1], off offset:16
	s_waitcnt vmcnt(0)
	v_cmp_eq_u64_e32 vcc_lo, 0, v[2:3]
	s_cbranch_vccnz .LBB5_1134
; %bb.1133:
	global_load_dword v0, v[0:1], off offset:24
	v_mov_b32_e32 v1, 0
	s_waitcnt vmcnt(0)
	v_and_b32_e32 v6, 0x7fffff, v0
	s_waitcnt_vscnt null, 0x0
	global_store_dwordx2 v[2:3], v[0:1], off
	v_readfirstlane_b32 m0, v6
	s_sendmsg sendmsg(MSG_INTERRUPT)
.LBB5_1134:
	s_or_b32 exec_lo, exec_lo, s5
	s_branch .LBB5_1138
	.p2align	6
.LBB5_1135:                             ;   in Loop: Header=BB5_1138 Depth=1
	s_or_b32 exec_lo, exec_lo, s5
	v_readfirstlane_b32 s5, v0
	s_cmp_eq_u32 s5, 0
	s_cbranch_scc1 .LBB5_1137
; %bb.1136:                             ;   in Loop: Header=BB5_1138 Depth=1
	s_sleep 1
	s_cbranch_execnz .LBB5_1138
	s_branch .LBB5_1140
	.p2align	6
.LBB5_1137:
	s_branch .LBB5_1140
.LBB5_1138:                             ; =>This Inner Loop Header: Depth=1
	v_mov_b32_e32 v0, 1
	s_and_saveexec_b32 s5, s4
	s_cbranch_execz .LBB5_1135
; %bb.1139:                             ;   in Loop: Header=BB5_1138 Depth=1
	global_load_dword v0, v[10:11], off offset:20 glc dlc
	s_waitcnt vmcnt(0)
	buffer_gl1_inv
	buffer_gl0_inv
	v_and_b32_e32 v0, 1, v0
	s_branch .LBB5_1135
.LBB5_1140:
	global_load_dwordx2 v[0:1], v[12:13], off
	s_and_saveexec_b32 s5, s4
	s_cbranch_execz .LBB5_1144
; %bb.1141:
	v_mov_b32_e32 v10, 0
	s_clause 0x2
	global_load_dwordx2 v[2:3], v10, s[26:27] offset:40
	global_load_dwordx2 v[11:12], v10, s[26:27] offset:24 glc dlc
	global_load_dwordx2 v[8:9], v10, s[26:27]
	s_waitcnt vmcnt(2)
	v_add_co_u32 v13, vcc_lo, v2, 1
	v_add_co_ci_u32_e32 v14, vcc_lo, 0, v3, vcc_lo
	v_add_co_u32 v6, vcc_lo, v13, s6
	v_add_co_ci_u32_e32 v7, vcc_lo, s7, v14, vcc_lo
	v_cmp_eq_u64_e32 vcc_lo, 0, v[6:7]
	v_cndmask_b32_e32 v7, v7, v14, vcc_lo
	v_cndmask_b32_e32 v6, v6, v13, vcc_lo
	v_and_b32_e32 v3, v7, v3
	v_and_b32_e32 v2, v6, v2
	v_mul_lo_u32 v3, v3, 24
	v_mul_hi_u32 v13, v2, 24
	v_mul_lo_u32 v2, v2, 24
	v_add_nc_u32_e32 v3, v13, v3
	s_waitcnt vmcnt(0)
	v_add_co_u32 v2, vcc_lo, v8, v2
	v_mov_b32_e32 v8, v11
	v_add_co_ci_u32_e32 v3, vcc_lo, v9, v3, vcc_lo
	v_mov_b32_e32 v9, v12
	global_store_dwordx2 v[2:3], v[11:12], off
	s_waitcnt_vscnt null, 0x0
	global_atomic_cmpswap_x2 v[8:9], v10, v[6:9], s[26:27] offset:24 glc
	s_waitcnt vmcnt(0)
	v_cmp_ne_u64_e32 vcc_lo, v[8:9], v[11:12]
	s_and_b32 exec_lo, exec_lo, vcc_lo
	s_cbranch_execz .LBB5_1144
; %bb.1142:
	s_mov_b32 s4, 0
.LBB5_1143:                             ; =>This Inner Loop Header: Depth=1
	s_sleep 1
	global_store_dwordx2 v[2:3], v[8:9], off
	s_waitcnt_vscnt null, 0x0
	global_atomic_cmpswap_x2 v[11:12], v10, v[6:9], s[26:27] offset:24 glc
	s_waitcnt vmcnt(0)
	v_cmp_eq_u64_e32 vcc_lo, v[11:12], v[8:9]
	v_mov_b32_e32 v8, v11
	v_mov_b32_e32 v9, v12
	s_or_b32 s4, vcc_lo, s4
	s_andn2_b32 exec_lo, exec_lo, s4
	s_cbranch_execnz .LBB5_1143
.LBB5_1144:
	s_or_b32 exec_lo, exec_lo, s5
	s_and_b32 vcc_lo, exec_lo, s34
	s_cbranch_vccz .LBB5_1223
; %bb.1145:
	s_waitcnt vmcnt(0)
	v_and_b32_e32 v33, 2, v0
	v_mov_b32_e32 v10, 0
	v_and_b32_e32 v6, -3, v0
	v_mov_b32_e32 v7, v1
	v_mov_b32_e32 v11, 2
	;; [unrolled: 1-line block ×3, first 2 shown]
	s_mov_b64 s[10:11], 3
	s_getpc_b64 s[6:7]
	s_add_u32 s6, s6, .str.9@rel32@lo+4
	s_addc_u32 s7, s7, .str.9@rel32@hi+12
	s_branch .LBB5_1147
.LBB5_1146:                             ;   in Loop: Header=BB5_1147 Depth=1
	s_or_b32 exec_lo, exec_lo, s5
	s_sub_u32 s10, s10, s16
	s_subb_u32 s11, s11, s17
	s_add_u32 s6, s6, s16
	s_addc_u32 s7, s7, s17
	s_cmp_lg_u64 s[10:11], 0
	s_cbranch_scc0 .LBB5_1222
.LBB5_1147:                             ; =>This Loop Header: Depth=1
                                        ;     Child Loop BB5_1156 Depth 2
                                        ;     Child Loop BB5_1152 Depth 2
	;; [unrolled: 1-line block ×11, first 2 shown]
	v_cmp_lt_u64_e64 s4, s[10:11], 56
	v_cmp_gt_u64_e64 s5, s[10:11], 7
                                        ; implicit-def: $vgpr15_vgpr16
                                        ; implicit-def: $sgpr22
	s_and_b32 s4, s4, exec_lo
	s_cselect_b32 s17, s11, 0
	s_cselect_b32 s16, s10, 56
	s_and_b32 vcc_lo, exec_lo, s5
	s_mov_b32 s4, -1
	s_cbranch_vccz .LBB5_1154
; %bb.1148:                             ;   in Loop: Header=BB5_1147 Depth=1
	s_andn2_b32 vcc_lo, exec_lo, s4
	s_mov_b64 s[4:5], s[6:7]
	s_cbranch_vccz .LBB5_1158
.LBB5_1149:                             ;   in Loop: Header=BB5_1147 Depth=1
	s_cmp_gt_u32 s22, 7
	s_cbranch_scc1 .LBB5_1159
.LBB5_1150:                             ;   in Loop: Header=BB5_1147 Depth=1
	v_mov_b32_e32 v17, 0
	v_mov_b32_e32 v18, 0
	s_cmp_eq_u32 s22, 0
	s_cbranch_scc1 .LBB5_1153
; %bb.1151:                             ;   in Loop: Header=BB5_1147 Depth=1
	s_mov_b64 s[18:19], 0
	s_mov_b64 s[20:21], 0
.LBB5_1152:                             ;   Parent Loop BB5_1147 Depth=1
                                        ; =>  This Inner Loop Header: Depth=2
	s_add_u32 s24, s4, s20
	s_addc_u32 s25, s5, s21
	s_add_u32 s20, s20, 1
	global_load_ubyte v2, v10, s[24:25]
	s_addc_u32 s21, s21, 0
	s_waitcnt vmcnt(0)
	v_and_b32_e32 v9, 0xffff, v2
	v_lshlrev_b64 v[2:3], s18, v[9:10]
	s_add_u32 s18, s18, 8
	s_addc_u32 s19, s19, 0
	s_cmp_lg_u32 s22, s20
	v_or_b32_e32 v17, v2, v17
	v_or_b32_e32 v18, v3, v18
	s_cbranch_scc1 .LBB5_1152
.LBB5_1153:                             ;   in Loop: Header=BB5_1147 Depth=1
	s_mov_b32 s23, 0
	s_cbranch_execz .LBB5_1160
	s_branch .LBB5_1161
.LBB5_1154:                             ;   in Loop: Header=BB5_1147 Depth=1
	v_mov_b32_e32 v15, 0
	v_mov_b32_e32 v16, 0
	s_cmp_eq_u64 s[10:11], 0
	s_mov_b64 s[4:5], 0
	s_cbranch_scc1 .LBB5_1157
; %bb.1155:                             ;   in Loop: Header=BB5_1147 Depth=1
	v_mov_b32_e32 v15, 0
	v_mov_b32_e32 v16, 0
	s_lshl_b64 s[18:19], s[16:17], 3
	s_mov_b64 s[20:21], s[6:7]
.LBB5_1156:                             ;   Parent Loop BB5_1147 Depth=1
                                        ; =>  This Inner Loop Header: Depth=2
	global_load_ubyte v2, v10, s[20:21]
	s_waitcnt vmcnt(0)
	v_and_b32_e32 v9, 0xffff, v2
	v_lshlrev_b64 v[2:3], s4, v[9:10]
	s_add_u32 s4, s4, 8
	s_addc_u32 s5, s5, 0
	s_add_u32 s20, s20, 1
	s_addc_u32 s21, s21, 0
	s_cmp_lg_u32 s18, s4
	v_or_b32_e32 v15, v2, v15
	v_or_b32_e32 v16, v3, v16
	s_cbranch_scc1 .LBB5_1156
.LBB5_1157:                             ;   in Loop: Header=BB5_1147 Depth=1
	s_mov_b32 s22, 0
	s_mov_b64 s[4:5], s[6:7]
	s_cbranch_execnz .LBB5_1149
.LBB5_1158:                             ;   in Loop: Header=BB5_1147 Depth=1
	global_load_dwordx2 v[15:16], v10, s[6:7]
	s_add_i32 s22, s16, -8
	s_add_u32 s4, s6, 8
	s_addc_u32 s5, s7, 0
	s_cmp_gt_u32 s22, 7
	s_cbranch_scc0 .LBB5_1150
.LBB5_1159:                             ;   in Loop: Header=BB5_1147 Depth=1
                                        ; implicit-def: $vgpr17_vgpr18
                                        ; implicit-def: $sgpr23
.LBB5_1160:                             ;   in Loop: Header=BB5_1147 Depth=1
	global_load_dwordx2 v[17:18], v10, s[4:5]
	s_add_i32 s23, s22, -8
	s_add_u32 s4, s4, 8
	s_addc_u32 s5, s5, 0
.LBB5_1161:                             ;   in Loop: Header=BB5_1147 Depth=1
	s_cmp_gt_u32 s23, 7
	s_cbranch_scc1 .LBB5_1166
; %bb.1162:                             ;   in Loop: Header=BB5_1147 Depth=1
	v_mov_b32_e32 v19, 0
	v_mov_b32_e32 v20, 0
	s_cmp_eq_u32 s23, 0
	s_cbranch_scc1 .LBB5_1165
; %bb.1163:                             ;   in Loop: Header=BB5_1147 Depth=1
	s_mov_b64 s[18:19], 0
	s_mov_b64 s[20:21], 0
.LBB5_1164:                             ;   Parent Loop BB5_1147 Depth=1
                                        ; =>  This Inner Loop Header: Depth=2
	s_add_u32 s24, s4, s20
	s_addc_u32 s25, s5, s21
	s_add_u32 s20, s20, 1
	global_load_ubyte v2, v10, s[24:25]
	s_addc_u32 s21, s21, 0
	s_waitcnt vmcnt(0)
	v_and_b32_e32 v9, 0xffff, v2
	v_lshlrev_b64 v[2:3], s18, v[9:10]
	s_add_u32 s18, s18, 8
	s_addc_u32 s19, s19, 0
	s_cmp_lg_u32 s23, s20
	v_or_b32_e32 v19, v2, v19
	v_or_b32_e32 v20, v3, v20
	s_cbranch_scc1 .LBB5_1164
.LBB5_1165:                             ;   in Loop: Header=BB5_1147 Depth=1
	s_mov_b32 s22, 0
	s_cbranch_execz .LBB5_1167
	s_branch .LBB5_1168
.LBB5_1166:                             ;   in Loop: Header=BB5_1147 Depth=1
                                        ; implicit-def: $sgpr22
.LBB5_1167:                             ;   in Loop: Header=BB5_1147 Depth=1
	global_load_dwordx2 v[19:20], v10, s[4:5]
	s_add_i32 s22, s23, -8
	s_add_u32 s4, s4, 8
	s_addc_u32 s5, s5, 0
.LBB5_1168:                             ;   in Loop: Header=BB5_1147 Depth=1
	s_cmp_gt_u32 s22, 7
	s_cbranch_scc1 .LBB5_1173
; %bb.1169:                             ;   in Loop: Header=BB5_1147 Depth=1
	v_mov_b32_e32 v21, 0
	v_mov_b32_e32 v22, 0
	s_cmp_eq_u32 s22, 0
	s_cbranch_scc1 .LBB5_1172
; %bb.1170:                             ;   in Loop: Header=BB5_1147 Depth=1
	s_mov_b64 s[18:19], 0
	s_mov_b64 s[20:21], 0
.LBB5_1171:                             ;   Parent Loop BB5_1147 Depth=1
                                        ; =>  This Inner Loop Header: Depth=2
	s_add_u32 s24, s4, s20
	s_addc_u32 s25, s5, s21
	s_add_u32 s20, s20, 1
	global_load_ubyte v2, v10, s[24:25]
	s_addc_u32 s21, s21, 0
	s_waitcnt vmcnt(0)
	v_and_b32_e32 v9, 0xffff, v2
	v_lshlrev_b64 v[2:3], s18, v[9:10]
	s_add_u32 s18, s18, 8
	s_addc_u32 s19, s19, 0
	s_cmp_lg_u32 s22, s20
	v_or_b32_e32 v21, v2, v21
	v_or_b32_e32 v22, v3, v22
	s_cbranch_scc1 .LBB5_1171
.LBB5_1172:                             ;   in Loop: Header=BB5_1147 Depth=1
	s_mov_b32 s23, 0
	s_cbranch_execz .LBB5_1174
	s_branch .LBB5_1175
.LBB5_1173:                             ;   in Loop: Header=BB5_1147 Depth=1
                                        ; implicit-def: $vgpr21_vgpr22
                                        ; implicit-def: $sgpr23
.LBB5_1174:                             ;   in Loop: Header=BB5_1147 Depth=1
	global_load_dwordx2 v[21:22], v10, s[4:5]
	s_add_i32 s23, s22, -8
	s_add_u32 s4, s4, 8
	s_addc_u32 s5, s5, 0
.LBB5_1175:                             ;   in Loop: Header=BB5_1147 Depth=1
	s_cmp_gt_u32 s23, 7
	s_cbranch_scc1 .LBB5_1180
; %bb.1176:                             ;   in Loop: Header=BB5_1147 Depth=1
	v_mov_b32_e32 v23, 0
	v_mov_b32_e32 v24, 0
	s_cmp_eq_u32 s23, 0
	s_cbranch_scc1 .LBB5_1179
; %bb.1177:                             ;   in Loop: Header=BB5_1147 Depth=1
	s_mov_b64 s[18:19], 0
	s_mov_b64 s[20:21], 0
.LBB5_1178:                             ;   Parent Loop BB5_1147 Depth=1
                                        ; =>  This Inner Loop Header: Depth=2
	s_add_u32 s24, s4, s20
	s_addc_u32 s25, s5, s21
	s_add_u32 s20, s20, 1
	global_load_ubyte v2, v10, s[24:25]
	s_addc_u32 s21, s21, 0
	s_waitcnt vmcnt(0)
	v_and_b32_e32 v9, 0xffff, v2
	v_lshlrev_b64 v[2:3], s18, v[9:10]
	s_add_u32 s18, s18, 8
	s_addc_u32 s19, s19, 0
	s_cmp_lg_u32 s23, s20
	v_or_b32_e32 v23, v2, v23
	v_or_b32_e32 v24, v3, v24
	s_cbranch_scc1 .LBB5_1178
.LBB5_1179:                             ;   in Loop: Header=BB5_1147 Depth=1
	s_mov_b32 s22, 0
	s_cbranch_execz .LBB5_1181
	s_branch .LBB5_1182
.LBB5_1180:                             ;   in Loop: Header=BB5_1147 Depth=1
                                        ; implicit-def: $sgpr22
.LBB5_1181:                             ;   in Loop: Header=BB5_1147 Depth=1
	global_load_dwordx2 v[23:24], v10, s[4:5]
	s_add_i32 s22, s23, -8
	s_add_u32 s4, s4, 8
	s_addc_u32 s5, s5, 0
.LBB5_1182:                             ;   in Loop: Header=BB5_1147 Depth=1
	s_cmp_gt_u32 s22, 7
	s_cbranch_scc1 .LBB5_1187
; %bb.1183:                             ;   in Loop: Header=BB5_1147 Depth=1
	v_mov_b32_e32 v25, 0
	v_mov_b32_e32 v26, 0
	s_cmp_eq_u32 s22, 0
	s_cbranch_scc1 .LBB5_1186
; %bb.1184:                             ;   in Loop: Header=BB5_1147 Depth=1
	s_mov_b64 s[18:19], 0
	s_mov_b64 s[20:21], 0
.LBB5_1185:                             ;   Parent Loop BB5_1147 Depth=1
                                        ; =>  This Inner Loop Header: Depth=2
	s_add_u32 s24, s4, s20
	s_addc_u32 s25, s5, s21
	s_add_u32 s20, s20, 1
	global_load_ubyte v2, v10, s[24:25]
	s_addc_u32 s21, s21, 0
	s_waitcnt vmcnt(0)
	v_and_b32_e32 v9, 0xffff, v2
	v_lshlrev_b64 v[2:3], s18, v[9:10]
	s_add_u32 s18, s18, 8
	s_addc_u32 s19, s19, 0
	s_cmp_lg_u32 s22, s20
	v_or_b32_e32 v25, v2, v25
	v_or_b32_e32 v26, v3, v26
	s_cbranch_scc1 .LBB5_1185
.LBB5_1186:                             ;   in Loop: Header=BB5_1147 Depth=1
	s_mov_b32 s23, 0
	s_cbranch_execz .LBB5_1188
	s_branch .LBB5_1189
.LBB5_1187:                             ;   in Loop: Header=BB5_1147 Depth=1
                                        ; implicit-def: $vgpr25_vgpr26
                                        ; implicit-def: $sgpr23
.LBB5_1188:                             ;   in Loop: Header=BB5_1147 Depth=1
	global_load_dwordx2 v[25:26], v10, s[4:5]
	s_add_i32 s23, s22, -8
	s_add_u32 s4, s4, 8
	s_addc_u32 s5, s5, 0
.LBB5_1189:                             ;   in Loop: Header=BB5_1147 Depth=1
	s_cmp_gt_u32 s23, 7
	s_cbranch_scc1 .LBB5_1194
; %bb.1190:                             ;   in Loop: Header=BB5_1147 Depth=1
	v_mov_b32_e32 v27, 0
	v_mov_b32_e32 v28, 0
	s_cmp_eq_u32 s23, 0
	s_cbranch_scc1 .LBB5_1193
; %bb.1191:                             ;   in Loop: Header=BB5_1147 Depth=1
	s_mov_b64 s[18:19], 0
	s_mov_b64 s[20:21], s[4:5]
.LBB5_1192:                             ;   Parent Loop BB5_1147 Depth=1
                                        ; =>  This Inner Loop Header: Depth=2
	global_load_ubyte v2, v10, s[20:21]
	s_add_i32 s23, s23, -1
	s_waitcnt vmcnt(0)
	v_and_b32_e32 v9, 0xffff, v2
	v_lshlrev_b64 v[2:3], s18, v[9:10]
	s_add_u32 s18, s18, 8
	s_addc_u32 s19, s19, 0
	s_add_u32 s20, s20, 1
	s_addc_u32 s21, s21, 0
	s_cmp_lg_u32 s23, 0
	v_or_b32_e32 v27, v2, v27
	v_or_b32_e32 v28, v3, v28
	s_cbranch_scc1 .LBB5_1192
.LBB5_1193:                             ;   in Loop: Header=BB5_1147 Depth=1
	s_cbranch_execz .LBB5_1195
	s_branch .LBB5_1196
.LBB5_1194:                             ;   in Loop: Header=BB5_1147 Depth=1
.LBB5_1195:                             ;   in Loop: Header=BB5_1147 Depth=1
	global_load_dwordx2 v[27:28], v10, s[4:5]
.LBB5_1196:                             ;   in Loop: Header=BB5_1147 Depth=1
	v_readfirstlane_b32 s4, v49
	v_mov_b32_e32 v2, 0
	v_mov_b32_e32 v3, 0
	v_cmp_eq_u32_e64 s4, s4, v49
	s_and_saveexec_b32 s5, s4
	s_cbranch_execz .LBB5_1202
; %bb.1197:                             ;   in Loop: Header=BB5_1147 Depth=1
	global_load_dwordx2 v[31:32], v10, s[26:27] offset:24 glc dlc
	s_waitcnt vmcnt(0)
	buffer_gl1_inv
	buffer_gl0_inv
	s_clause 0x1
	global_load_dwordx2 v[2:3], v10, s[26:27] offset:40
	global_load_dwordx2 v[8:9], v10, s[26:27]
	s_mov_b32 s18, exec_lo
	s_waitcnt vmcnt(1)
	v_and_b32_e32 v3, v3, v32
	v_and_b32_e32 v2, v2, v31
	v_mul_lo_u32 v3, v3, 24
	v_mul_hi_u32 v13, v2, 24
	v_mul_lo_u32 v2, v2, 24
	v_add_nc_u32_e32 v3, v13, v3
	s_waitcnt vmcnt(0)
	v_add_co_u32 v2, vcc_lo, v8, v2
	v_add_co_ci_u32_e32 v3, vcc_lo, v9, v3, vcc_lo
	global_load_dwordx2 v[29:30], v[2:3], off glc dlc
	s_waitcnt vmcnt(0)
	global_atomic_cmpswap_x2 v[2:3], v10, v[29:32], s[26:27] offset:24 glc
	s_waitcnt vmcnt(0)
	buffer_gl1_inv
	buffer_gl0_inv
	v_cmpx_ne_u64_e64 v[2:3], v[31:32]
	s_cbranch_execz .LBB5_1201
; %bb.1198:                             ;   in Loop: Header=BB5_1147 Depth=1
	s_mov_b32 s19, 0
	.p2align	6
.LBB5_1199:                             ;   Parent Loop BB5_1147 Depth=1
                                        ; =>  This Inner Loop Header: Depth=2
	s_sleep 1
	s_clause 0x1
	global_load_dwordx2 v[8:9], v10, s[26:27] offset:40
	global_load_dwordx2 v[13:14], v10, s[26:27]
	v_mov_b32_e32 v32, v3
	v_mov_b32_e32 v31, v2
	s_waitcnt vmcnt(1)
	v_and_b32_e32 v2, v8, v31
	v_and_b32_e32 v8, v9, v32
	s_waitcnt vmcnt(0)
	v_mad_u64_u32 v[2:3], null, v2, 24, v[13:14]
	v_mad_u64_u32 v[8:9], null, v8, 24, v[3:4]
	v_mov_b32_e32 v3, v8
	global_load_dwordx2 v[29:30], v[2:3], off glc dlc
	s_waitcnt vmcnt(0)
	global_atomic_cmpswap_x2 v[2:3], v10, v[29:32], s[26:27] offset:24 glc
	s_waitcnt vmcnt(0)
	buffer_gl1_inv
	buffer_gl0_inv
	v_cmp_eq_u64_e32 vcc_lo, v[2:3], v[31:32]
	s_or_b32 s19, vcc_lo, s19
	s_andn2_b32 exec_lo, exec_lo, s19
	s_cbranch_execnz .LBB5_1199
; %bb.1200:                             ;   in Loop: Header=BB5_1147 Depth=1
	s_or_b32 exec_lo, exec_lo, s19
.LBB5_1201:                             ;   in Loop: Header=BB5_1147 Depth=1
	s_or_b32 exec_lo, exec_lo, s18
.LBB5_1202:                             ;   in Loop: Header=BB5_1147 Depth=1
	s_or_b32 exec_lo, exec_lo, s5
	s_clause 0x1
	global_load_dwordx2 v[8:9], v10, s[26:27] offset:40
	global_load_dwordx4 v[29:32], v10, s[26:27]
	v_readfirstlane_b32 s18, v2
	v_readfirstlane_b32 s19, v3
	s_mov_b32 s5, exec_lo
	s_waitcnt vmcnt(1)
	v_readfirstlane_b32 s20, v8
	v_readfirstlane_b32 s21, v9
	s_and_b64 s[20:21], s[18:19], s[20:21]
	s_mul_i32 s22, s21, 24
	s_mul_hi_u32 s23, s20, 24
	s_mul_i32 s24, s20, 24
	s_add_i32 s23, s23, s22
	s_waitcnt vmcnt(0)
	v_add_co_u32 v2, vcc_lo, v29, s24
	v_add_co_ci_u32_e32 v3, vcc_lo, s23, v30, vcc_lo
	s_and_saveexec_b32 s22, s4
	s_cbranch_execz .LBB5_1204
; %bb.1203:                             ;   in Loop: Header=BB5_1147 Depth=1
	v_mov_b32_e32 v9, s5
	global_store_dwordx4 v[2:3], v[9:12], off offset:8
.LBB5_1204:                             ;   in Loop: Header=BB5_1147 Depth=1
	s_or_b32 exec_lo, exec_lo, s22
	s_lshl_b64 s[20:21], s[20:21], 12
	v_cmp_gt_u64_e64 vcc_lo, s[10:11], 56
	v_or_b32_e32 v9, v6, v33
	v_add_co_u32 v31, s5, v31, s20
	v_add_co_ci_u32_e64 v32, s5, s21, v32, s5
	s_lshl_b32 s5, s16, 2
	v_or_b32_e32 v8, 0, v7
	v_cndmask_b32_e32 v6, v9, v6, vcc_lo
	s_add_i32 s5, s5, 28
	v_readfirstlane_b32 s20, v31
	s_and_b32 s5, s5, 0x1e0
	v_cndmask_b32_e32 v14, v8, v7, vcc_lo
	v_readfirstlane_b32 s21, v32
	v_and_or_b32 v13, 0xffffff1f, v6, s5
	global_store_dwordx4 v48, v[13:16], s[20:21]
	global_store_dwordx4 v48, v[17:20], s[20:21] offset:16
	global_store_dwordx4 v48, v[21:24], s[20:21] offset:32
	;; [unrolled: 1-line block ×3, first 2 shown]
	s_and_saveexec_b32 s5, s4
	s_cbranch_execz .LBB5_1212
; %bb.1205:                             ;   in Loop: Header=BB5_1147 Depth=1
	s_clause 0x1
	global_load_dwordx2 v[17:18], v10, s[26:27] offset:32 glc dlc
	global_load_dwordx2 v[6:7], v10, s[26:27] offset:40
	v_mov_b32_e32 v15, s18
	v_mov_b32_e32 v16, s19
	s_waitcnt vmcnt(0)
	v_readfirstlane_b32 s20, v6
	v_readfirstlane_b32 s21, v7
	s_and_b64 s[20:21], s[20:21], s[18:19]
	s_mul_i32 s21, s21, 24
	s_mul_hi_u32 s22, s20, 24
	s_mul_i32 s20, s20, 24
	s_add_i32 s22, s22, s21
	v_add_co_u32 v13, vcc_lo, v29, s20
	v_add_co_ci_u32_e32 v14, vcc_lo, s22, v30, vcc_lo
	s_mov_b32 s20, exec_lo
	global_store_dwordx2 v[13:14], v[17:18], off
	s_waitcnt_vscnt null, 0x0
	global_atomic_cmpswap_x2 v[8:9], v10, v[15:18], s[26:27] offset:32 glc
	s_waitcnt vmcnt(0)
	v_cmpx_ne_u64_e64 v[8:9], v[17:18]
	s_cbranch_execz .LBB5_1208
; %bb.1206:                             ;   in Loop: Header=BB5_1147 Depth=1
	s_mov_b32 s21, 0
.LBB5_1207:                             ;   Parent Loop BB5_1147 Depth=1
                                        ; =>  This Inner Loop Header: Depth=2
	v_mov_b32_e32 v6, s18
	v_mov_b32_e32 v7, s19
	s_sleep 1
	global_store_dwordx2 v[13:14], v[8:9], off
	s_waitcnt_vscnt null, 0x0
	global_atomic_cmpswap_x2 v[6:7], v10, v[6:9], s[26:27] offset:32 glc
	s_waitcnt vmcnt(0)
	v_cmp_eq_u64_e32 vcc_lo, v[6:7], v[8:9]
	v_mov_b32_e32 v9, v7
	v_mov_b32_e32 v8, v6
	s_or_b32 s21, vcc_lo, s21
	s_andn2_b32 exec_lo, exec_lo, s21
	s_cbranch_execnz .LBB5_1207
.LBB5_1208:                             ;   in Loop: Header=BB5_1147 Depth=1
	s_or_b32 exec_lo, exec_lo, s20
	global_load_dwordx2 v[6:7], v10, s[26:27] offset:16
	s_mov_b32 s21, exec_lo
	s_mov_b32 s20, exec_lo
	v_mbcnt_lo_u32_b32 v8, s21, 0
	v_cmpx_eq_u32_e32 0, v8
	s_cbranch_execz .LBB5_1210
; %bb.1209:                             ;   in Loop: Header=BB5_1147 Depth=1
	s_bcnt1_i32_b32 s21, s21
	v_mov_b32_e32 v9, s21
	s_waitcnt vmcnt(0)
	global_atomic_add_x2 v[6:7], v[9:10], off offset:8
.LBB5_1210:                             ;   in Loop: Header=BB5_1147 Depth=1
	s_or_b32 exec_lo, exec_lo, s20
	s_waitcnt vmcnt(0)
	global_load_dwordx2 v[13:14], v[6:7], off offset:16
	s_waitcnt vmcnt(0)
	v_cmp_eq_u64_e32 vcc_lo, 0, v[13:14]
	s_cbranch_vccnz .LBB5_1212
; %bb.1211:                             ;   in Loop: Header=BB5_1147 Depth=1
	global_load_dword v9, v[6:7], off offset:24
	s_waitcnt vmcnt(0)
	v_and_b32_e32 v6, 0x7fffff, v9
	s_waitcnt_vscnt null, 0x0
	global_store_dwordx2 v[13:14], v[9:10], off
	v_readfirstlane_b32 m0, v6
	s_sendmsg sendmsg(MSG_INTERRUPT)
.LBB5_1212:                             ;   in Loop: Header=BB5_1147 Depth=1
	s_or_b32 exec_lo, exec_lo, s5
	v_add_co_u32 v6, vcc_lo, v31, v48
	v_add_co_ci_u32_e32 v7, vcc_lo, 0, v32, vcc_lo
	s_branch .LBB5_1216
	.p2align	6
.LBB5_1213:                             ;   in Loop: Header=BB5_1216 Depth=2
	s_or_b32 exec_lo, exec_lo, s5
	v_readfirstlane_b32 s5, v8
	s_cmp_eq_u32 s5, 0
	s_cbranch_scc1 .LBB5_1215
; %bb.1214:                             ;   in Loop: Header=BB5_1216 Depth=2
	s_sleep 1
	s_cbranch_execnz .LBB5_1216
	s_branch .LBB5_1218
	.p2align	6
.LBB5_1215:                             ;   in Loop: Header=BB5_1147 Depth=1
	s_branch .LBB5_1218
.LBB5_1216:                             ;   Parent Loop BB5_1147 Depth=1
                                        ; =>  This Inner Loop Header: Depth=2
	v_mov_b32_e32 v8, 1
	s_and_saveexec_b32 s5, s4
	s_cbranch_execz .LBB5_1213
; %bb.1217:                             ;   in Loop: Header=BB5_1216 Depth=2
	global_load_dword v8, v[2:3], off offset:20 glc dlc
	s_waitcnt vmcnt(0)
	buffer_gl1_inv
	buffer_gl0_inv
	v_and_b32_e32 v8, 1, v8
	s_branch .LBB5_1213
.LBB5_1218:                             ;   in Loop: Header=BB5_1147 Depth=1
	global_load_dwordx4 v[6:9], v[6:7], off
	s_and_saveexec_b32 s5, s4
	s_cbranch_execz .LBB5_1146
; %bb.1219:                             ;   in Loop: Header=BB5_1147 Depth=1
	s_clause 0x2
	global_load_dwordx2 v[2:3], v10, s[26:27] offset:40
	global_load_dwordx2 v[8:9], v10, s[26:27] offset:24 glc dlc
	global_load_dwordx2 v[15:16], v10, s[26:27]
	s_waitcnt vmcnt(2)
	v_add_co_u32 v17, vcc_lo, v2, 1
	v_add_co_ci_u32_e32 v18, vcc_lo, 0, v3, vcc_lo
	v_add_co_u32 v13, vcc_lo, v17, s18
	v_add_co_ci_u32_e32 v14, vcc_lo, s19, v18, vcc_lo
	v_cmp_eq_u64_e32 vcc_lo, 0, v[13:14]
	v_cndmask_b32_e32 v14, v14, v18, vcc_lo
	v_cndmask_b32_e32 v13, v13, v17, vcc_lo
	v_and_b32_e32 v3, v14, v3
	v_and_b32_e32 v2, v13, v2
	v_mul_lo_u32 v3, v3, 24
	v_mul_hi_u32 v17, v2, 24
	v_mul_lo_u32 v2, v2, 24
	v_add_nc_u32_e32 v3, v17, v3
	s_waitcnt vmcnt(0)
	v_add_co_u32 v2, vcc_lo, v15, v2
	v_mov_b32_e32 v15, v8
	v_add_co_ci_u32_e32 v3, vcc_lo, v16, v3, vcc_lo
	v_mov_b32_e32 v16, v9
	global_store_dwordx2 v[2:3], v[8:9], off
	s_waitcnt_vscnt null, 0x0
	global_atomic_cmpswap_x2 v[15:16], v10, v[13:16], s[26:27] offset:24 glc
	s_waitcnt vmcnt(0)
	v_cmp_ne_u64_e32 vcc_lo, v[15:16], v[8:9]
	s_and_b32 exec_lo, exec_lo, vcc_lo
	s_cbranch_execz .LBB5_1146
; %bb.1220:                             ;   in Loop: Header=BB5_1147 Depth=1
	s_mov_b32 s4, 0
.LBB5_1221:                             ;   Parent Loop BB5_1147 Depth=1
                                        ; =>  This Inner Loop Header: Depth=2
	s_sleep 1
	global_store_dwordx2 v[2:3], v[15:16], off
	s_waitcnt_vscnt null, 0x0
	global_atomic_cmpswap_x2 v[8:9], v10, v[13:16], s[26:27] offset:24 glc
	s_waitcnt vmcnt(0)
	v_cmp_eq_u64_e32 vcc_lo, v[8:9], v[15:16]
	v_mov_b32_e32 v16, v9
	v_mov_b32_e32 v15, v8
	s_or_b32 s4, vcc_lo, s4
	s_andn2_b32 exec_lo, exec_lo, s4
	s_cbranch_execnz .LBB5_1221
	s_branch .LBB5_1146
.LBB5_1222:
	s_branch .LBB5_1251
.LBB5_1223:
                                        ; implicit-def: $vgpr6_vgpr7
	s_cbranch_execz .LBB5_1251
; %bb.1224:
	v_readfirstlane_b32 s4, v49
	v_mov_b32_e32 v10, 0
	v_mov_b32_e32 v11, 0
	v_cmp_eq_u32_e64 s4, s4, v49
	s_and_saveexec_b32 s5, s4
	s_cbranch_execz .LBB5_1230
; %bb.1225:
	v_mov_b32_e32 v2, 0
	s_mov_b32 s6, exec_lo
	global_load_dwordx2 v[8:9], v2, s[26:27] offset:24 glc dlc
	s_waitcnt vmcnt(0)
	buffer_gl1_inv
	buffer_gl0_inv
	s_clause 0x1
	global_load_dwordx2 v[6:7], v2, s[26:27] offset:40
	global_load_dwordx2 v[10:11], v2, s[26:27]
	s_waitcnt vmcnt(1)
	v_and_b32_e32 v3, v7, v9
	v_and_b32_e32 v6, v6, v8
	v_mul_lo_u32 v3, v3, 24
	v_mul_hi_u32 v7, v6, 24
	v_mul_lo_u32 v6, v6, 24
	v_add_nc_u32_e32 v3, v7, v3
	s_waitcnt vmcnt(0)
	v_add_co_u32 v6, vcc_lo, v10, v6
	v_add_co_ci_u32_e32 v7, vcc_lo, v11, v3, vcc_lo
	global_load_dwordx2 v[6:7], v[6:7], off glc dlc
	s_waitcnt vmcnt(0)
	global_atomic_cmpswap_x2 v[10:11], v2, v[6:9], s[26:27] offset:24 glc
	s_waitcnt vmcnt(0)
	buffer_gl1_inv
	buffer_gl0_inv
	v_cmpx_ne_u64_e64 v[10:11], v[8:9]
	s_cbranch_execz .LBB5_1229
; %bb.1226:
	s_mov_b32 s7, 0
	.p2align	6
.LBB5_1227:                             ; =>This Inner Loop Header: Depth=1
	s_sleep 1
	s_clause 0x1
	global_load_dwordx2 v[6:7], v2, s[26:27] offset:40
	global_load_dwordx2 v[12:13], v2, s[26:27]
	v_mov_b32_e32 v8, v10
	v_mov_b32_e32 v9, v11
	s_waitcnt vmcnt(1)
	v_and_b32_e32 v3, v6, v8
	v_and_b32_e32 v6, v7, v9
	s_waitcnt vmcnt(0)
	v_mad_u64_u32 v[10:11], null, v3, 24, v[12:13]
	v_mov_b32_e32 v3, v11
	v_mad_u64_u32 v[6:7], null, v6, 24, v[3:4]
	v_mov_b32_e32 v11, v6
	global_load_dwordx2 v[6:7], v[10:11], off glc dlc
	s_waitcnt vmcnt(0)
	global_atomic_cmpswap_x2 v[10:11], v2, v[6:9], s[26:27] offset:24 glc
	s_waitcnt vmcnt(0)
	buffer_gl1_inv
	buffer_gl0_inv
	v_cmp_eq_u64_e32 vcc_lo, v[10:11], v[8:9]
	s_or_b32 s7, vcc_lo, s7
	s_andn2_b32 exec_lo, exec_lo, s7
	s_cbranch_execnz .LBB5_1227
; %bb.1228:
	s_or_b32 exec_lo, exec_lo, s7
.LBB5_1229:
	s_or_b32 exec_lo, exec_lo, s6
.LBB5_1230:
	s_or_b32 exec_lo, exec_lo, s5
	v_mov_b32_e32 v2, 0
	v_readfirstlane_b32 s6, v10
	v_readfirstlane_b32 s7, v11
	s_mov_b32 s5, exec_lo
	s_clause 0x1
	global_load_dwordx2 v[12:13], v2, s[26:27] offset:40
	global_load_dwordx4 v[6:9], v2, s[26:27]
	s_waitcnt vmcnt(1)
	v_readfirstlane_b32 s10, v12
	v_readfirstlane_b32 s11, v13
	s_and_b64 s[10:11], s[6:7], s[10:11]
	s_mul_i32 s16, s11, 24
	s_mul_hi_u32 s17, s10, 24
	s_mul_i32 s18, s10, 24
	s_add_i32 s17, s17, s16
	s_waitcnt vmcnt(0)
	v_add_co_u32 v10, vcc_lo, v6, s18
	v_add_co_ci_u32_e32 v11, vcc_lo, s17, v7, vcc_lo
	s_and_saveexec_b32 s16, s4
	s_cbranch_execz .LBB5_1232
; %bb.1231:
	v_mov_b32_e32 v12, s5
	v_mov_b32_e32 v13, v2
	;; [unrolled: 1-line block ×4, first 2 shown]
	global_store_dwordx4 v[10:11], v[12:15], off offset:8
.LBB5_1232:
	s_or_b32 exec_lo, exec_lo, s16
	s_lshl_b64 s[10:11], s[10:11], 12
	s_mov_b32 s16, 0
	v_add_co_u32 v8, vcc_lo, v8, s10
	v_add_co_ci_u32_e32 v9, vcc_lo, s11, v9, vcc_lo
	s_mov_b32 s17, s16
	v_readfirstlane_b32 s10, v8
	v_add_co_u32 v8, vcc_lo, v8, v48
	s_mov_b32 s18, s16
	s_mov_b32 s19, s16
	v_and_or_b32 v0, 0xffffff1f, v0, 32
	v_mov_b32_e32 v3, v2
	v_readfirstlane_b32 s11, v9
	v_mov_b32_e32 v12, s16
	v_add_co_ci_u32_e32 v9, vcc_lo, 0, v9, vcc_lo
	v_mov_b32_e32 v13, s17
	v_mov_b32_e32 v14, s18
	;; [unrolled: 1-line block ×3, first 2 shown]
	global_store_dwordx4 v48, v[0:3], s[10:11]
	global_store_dwordx4 v48, v[12:15], s[10:11] offset:16
	global_store_dwordx4 v48, v[12:15], s[10:11] offset:32
	;; [unrolled: 1-line block ×3, first 2 shown]
	s_and_saveexec_b32 s5, s4
	s_cbranch_execz .LBB5_1240
; %bb.1233:
	v_mov_b32_e32 v12, 0
	v_mov_b32_e32 v13, s6
	;; [unrolled: 1-line block ×3, first 2 shown]
	s_clause 0x1
	global_load_dwordx2 v[15:16], v12, s[26:27] offset:32 glc dlc
	global_load_dwordx2 v[0:1], v12, s[26:27] offset:40
	s_waitcnt vmcnt(0)
	v_readfirstlane_b32 s10, v0
	v_readfirstlane_b32 s11, v1
	s_and_b64 s[10:11], s[10:11], s[6:7]
	s_mul_i32 s11, s11, 24
	s_mul_hi_u32 s16, s10, 24
	s_mul_i32 s10, s10, 24
	s_add_i32 s16, s16, s11
	v_add_co_u32 v6, vcc_lo, v6, s10
	v_add_co_ci_u32_e32 v7, vcc_lo, s16, v7, vcc_lo
	s_mov_b32 s10, exec_lo
	global_store_dwordx2 v[6:7], v[15:16], off
	s_waitcnt_vscnt null, 0x0
	global_atomic_cmpswap_x2 v[2:3], v12, v[13:16], s[26:27] offset:32 glc
	s_waitcnt vmcnt(0)
	v_cmpx_ne_u64_e64 v[2:3], v[15:16]
	s_cbranch_execz .LBB5_1236
; %bb.1234:
	s_mov_b32 s11, 0
.LBB5_1235:                             ; =>This Inner Loop Header: Depth=1
	v_mov_b32_e32 v0, s6
	v_mov_b32_e32 v1, s7
	s_sleep 1
	global_store_dwordx2 v[6:7], v[2:3], off
	s_waitcnt_vscnt null, 0x0
	global_atomic_cmpswap_x2 v[0:1], v12, v[0:3], s[26:27] offset:32 glc
	s_waitcnt vmcnt(0)
	v_cmp_eq_u64_e32 vcc_lo, v[0:1], v[2:3]
	v_mov_b32_e32 v3, v1
	v_mov_b32_e32 v2, v0
	s_or_b32 s11, vcc_lo, s11
	s_andn2_b32 exec_lo, exec_lo, s11
	s_cbranch_execnz .LBB5_1235
.LBB5_1236:
	s_or_b32 exec_lo, exec_lo, s10
	v_mov_b32_e32 v3, 0
	s_mov_b32 s11, exec_lo
	s_mov_b32 s10, exec_lo
	v_mbcnt_lo_u32_b32 v2, s11, 0
	global_load_dwordx2 v[0:1], v3, s[26:27] offset:16
	v_cmpx_eq_u32_e32 0, v2
	s_cbranch_execz .LBB5_1238
; %bb.1237:
	s_bcnt1_i32_b32 s11, s11
	v_mov_b32_e32 v2, s11
	s_waitcnt vmcnt(0)
	global_atomic_add_x2 v[0:1], v[2:3], off offset:8
.LBB5_1238:
	s_or_b32 exec_lo, exec_lo, s10
	s_waitcnt vmcnt(0)
	global_load_dwordx2 v[2:3], v[0:1], off offset:16
	s_waitcnt vmcnt(0)
	v_cmp_eq_u64_e32 vcc_lo, 0, v[2:3]
	s_cbranch_vccnz .LBB5_1240
; %bb.1239:
	global_load_dword v0, v[0:1], off offset:24
	v_mov_b32_e32 v1, 0
	s_waitcnt vmcnt(0)
	v_and_b32_e32 v6, 0x7fffff, v0
	s_waitcnt_vscnt null, 0x0
	global_store_dwordx2 v[2:3], v[0:1], off
	v_readfirstlane_b32 m0, v6
	s_sendmsg sendmsg(MSG_INTERRUPT)
.LBB5_1240:
	s_or_b32 exec_lo, exec_lo, s5
	s_branch .LBB5_1244
	.p2align	6
.LBB5_1241:                             ;   in Loop: Header=BB5_1244 Depth=1
	s_or_b32 exec_lo, exec_lo, s5
	v_readfirstlane_b32 s5, v0
	s_cmp_eq_u32 s5, 0
	s_cbranch_scc1 .LBB5_1243
; %bb.1242:                             ;   in Loop: Header=BB5_1244 Depth=1
	s_sleep 1
	s_cbranch_execnz .LBB5_1244
	s_branch .LBB5_1246
	.p2align	6
.LBB5_1243:
	s_branch .LBB5_1246
.LBB5_1244:                             ; =>This Inner Loop Header: Depth=1
	v_mov_b32_e32 v0, 1
	s_and_saveexec_b32 s5, s4
	s_cbranch_execz .LBB5_1241
; %bb.1245:                             ;   in Loop: Header=BB5_1244 Depth=1
	global_load_dword v0, v[10:11], off offset:20 glc dlc
	s_waitcnt vmcnt(0)
	buffer_gl1_inv
	buffer_gl0_inv
	v_and_b32_e32 v0, 1, v0
	s_branch .LBB5_1241
.LBB5_1246:
	global_load_dwordx2 v[6:7], v[8:9], off
	s_and_saveexec_b32 s5, s4
	s_cbranch_execz .LBB5_1250
; %bb.1247:
	v_mov_b32_e32 v10, 0
	s_clause 0x2
	global_load_dwordx2 v[2:3], v10, s[26:27] offset:40
	global_load_dwordx2 v[11:12], v10, s[26:27] offset:24 glc dlc
	global_load_dwordx2 v[8:9], v10, s[26:27]
	s_waitcnt vmcnt(2)
	v_add_co_u32 v13, vcc_lo, v2, 1
	v_add_co_ci_u32_e32 v14, vcc_lo, 0, v3, vcc_lo
	v_add_co_u32 v0, vcc_lo, v13, s6
	v_add_co_ci_u32_e32 v1, vcc_lo, s7, v14, vcc_lo
	v_cmp_eq_u64_e32 vcc_lo, 0, v[0:1]
	v_cndmask_b32_e32 v1, v1, v14, vcc_lo
	v_cndmask_b32_e32 v0, v0, v13, vcc_lo
	v_and_b32_e32 v3, v1, v3
	v_and_b32_e32 v2, v0, v2
	v_mul_lo_u32 v3, v3, 24
	v_mul_hi_u32 v13, v2, 24
	v_mul_lo_u32 v2, v2, 24
	v_add_nc_u32_e32 v3, v13, v3
	s_waitcnt vmcnt(0)
	v_add_co_u32 v8, vcc_lo, v8, v2
	v_mov_b32_e32 v2, v11
	v_add_co_ci_u32_e32 v9, vcc_lo, v9, v3, vcc_lo
	v_mov_b32_e32 v3, v12
	global_store_dwordx2 v[8:9], v[11:12], off
	s_waitcnt_vscnt null, 0x0
	global_atomic_cmpswap_x2 v[2:3], v10, v[0:3], s[26:27] offset:24 glc
	s_waitcnt vmcnt(0)
	v_cmp_ne_u64_e32 vcc_lo, v[2:3], v[11:12]
	s_and_b32 exec_lo, exec_lo, vcc_lo
	s_cbranch_execz .LBB5_1250
; %bb.1248:
	s_mov_b32 s4, 0
.LBB5_1249:                             ; =>This Inner Loop Header: Depth=1
	s_sleep 1
	global_store_dwordx2 v[8:9], v[2:3], off
	s_waitcnt_vscnt null, 0x0
	global_atomic_cmpswap_x2 v[11:12], v10, v[0:3], s[26:27] offset:24 glc
	s_waitcnt vmcnt(0)
	v_cmp_eq_u64_e32 vcc_lo, v[11:12], v[2:3]
	v_mov_b32_e32 v2, v11
	v_mov_b32_e32 v3, v12
	s_or_b32 s4, vcc_lo, s4
	s_andn2_b32 exec_lo, exec_lo, s4
	s_cbranch_execnz .LBB5_1249
.LBB5_1250:
	s_or_b32 exec_lo, exec_lo, s5
.LBB5_1251:
	v_readfirstlane_b32 s4, v49
	v_mov_b32_e32 v10, 0
	v_mov_b32_e32 v11, 0
	v_cmp_eq_u32_e64 s4, s4, v49
	s_and_saveexec_b32 s5, s4
	s_cbranch_execz .LBB5_1257
; %bb.1252:
	s_waitcnt vmcnt(0)
	v_mov_b32_e32 v0, 0
	s_mov_b32 s6, exec_lo
	global_load_dwordx2 v[12:13], v0, s[26:27] offset:24 glc dlc
	s_waitcnt vmcnt(0)
	buffer_gl1_inv
	buffer_gl0_inv
	s_clause 0x1
	global_load_dwordx2 v[1:2], v0, s[26:27] offset:40
	global_load_dwordx2 v[8:9], v0, s[26:27]
	s_waitcnt vmcnt(1)
	v_and_b32_e32 v2, v2, v13
	v_and_b32_e32 v1, v1, v12
	v_mul_lo_u32 v2, v2, 24
	v_mul_hi_u32 v3, v1, 24
	v_mul_lo_u32 v1, v1, 24
	v_add_nc_u32_e32 v2, v3, v2
	s_waitcnt vmcnt(0)
	v_add_co_u32 v1, vcc_lo, v8, v1
	v_add_co_ci_u32_e32 v2, vcc_lo, v9, v2, vcc_lo
	global_load_dwordx2 v[10:11], v[1:2], off glc dlc
	s_waitcnt vmcnt(0)
	global_atomic_cmpswap_x2 v[10:11], v0, v[10:13], s[26:27] offset:24 glc
	s_waitcnt vmcnt(0)
	buffer_gl1_inv
	buffer_gl0_inv
	v_cmpx_ne_u64_e64 v[10:11], v[12:13]
	s_cbranch_execz .LBB5_1256
; %bb.1253:
	s_mov_b32 s7, 0
	.p2align	6
.LBB5_1254:                             ; =>This Inner Loop Header: Depth=1
	s_sleep 1
	s_clause 0x1
	global_load_dwordx2 v[1:2], v0, s[26:27] offset:40
	global_load_dwordx2 v[8:9], v0, s[26:27]
	v_mov_b32_e32 v13, v11
	v_mov_b32_e32 v12, v10
	s_waitcnt vmcnt(1)
	v_and_b32_e32 v1, v1, v12
	v_and_b32_e32 v2, v2, v13
	s_waitcnt vmcnt(0)
	v_mad_u64_u32 v[8:9], null, v1, 24, v[8:9]
	v_mov_b32_e32 v1, v9
	v_mad_u64_u32 v[1:2], null, v2, 24, v[1:2]
	v_mov_b32_e32 v9, v1
	global_load_dwordx2 v[10:11], v[8:9], off glc dlc
	s_waitcnt vmcnt(0)
	global_atomic_cmpswap_x2 v[10:11], v0, v[10:13], s[26:27] offset:24 glc
	s_waitcnt vmcnt(0)
	buffer_gl1_inv
	buffer_gl0_inv
	v_cmp_eq_u64_e32 vcc_lo, v[10:11], v[12:13]
	s_or_b32 s7, vcc_lo, s7
	s_andn2_b32 exec_lo, exec_lo, s7
	s_cbranch_execnz .LBB5_1254
; %bb.1255:
	s_or_b32 exec_lo, exec_lo, s7
.LBB5_1256:
	s_or_b32 exec_lo, exec_lo, s6
.LBB5_1257:
	s_or_b32 exec_lo, exec_lo, s5
	s_waitcnt vmcnt(0)
	v_mov_b32_e32 v9, 0
	v_readfirstlane_b32 s6, v10
	v_readfirstlane_b32 s7, v11
	s_mov_b32 s5, exec_lo
	s_clause 0x1
	global_load_dwordx2 v[12:13], v9, s[26:27] offset:40
	global_load_dwordx4 v[0:3], v9, s[26:27]
	s_waitcnt vmcnt(1)
	v_readfirstlane_b32 s10, v12
	v_readfirstlane_b32 s11, v13
	s_and_b64 s[10:11], s[6:7], s[10:11]
	s_mul_i32 s16, s11, 24
	s_mul_hi_u32 s17, s10, 24
	s_mul_i32 s18, s10, 24
	s_add_i32 s17, s17, s16
	s_waitcnt vmcnt(0)
	v_add_co_u32 v10, vcc_lo, v0, s18
	v_add_co_ci_u32_e32 v11, vcc_lo, s17, v1, vcc_lo
	s_and_saveexec_b32 s16, s4
	s_cbranch_execz .LBB5_1259
; %bb.1258:
	v_mov_b32_e32 v8, s5
	v_mov_b32_e32 v13, v9
	;; [unrolled: 1-line block ×5, first 2 shown]
	global_store_dwordx4 v[10:11], v[12:15], off offset:8
.LBB5_1259:
	s_or_b32 exec_lo, exec_lo, s16
	s_lshl_b64 s[10:11], s[10:11], 12
	s_mov_b32 s16, 0
	v_add_co_u32 v2, vcc_lo, v2, s10
	v_add_co_ci_u32_e32 v3, vcc_lo, s11, v3, vcc_lo
	s_mov_b32 s17, s16
	s_mov_b32 s18, s16
	;; [unrolled: 1-line block ×3, first 2 shown]
	v_and_or_b32 v6, 0xffffff1d, v6, 34
	v_mov_b32_e32 v8, 10
	v_readfirstlane_b32 s10, v2
	v_readfirstlane_b32 s11, v3
	v_mov_b32_e32 v12, s16
	v_mov_b32_e32 v13, s17
	;; [unrolled: 1-line block ×4, first 2 shown]
	global_store_dwordx4 v48, v[6:9], s[10:11]
	global_store_dwordx4 v48, v[12:15], s[10:11] offset:16
	global_store_dwordx4 v48, v[12:15], s[10:11] offset:32
	;; [unrolled: 1-line block ×3, first 2 shown]
	s_and_saveexec_b32 s5, s4
	s_cbranch_execz .LBB5_1267
; %bb.1260:
	v_mov_b32_e32 v8, 0
	v_mov_b32_e32 v12, s6
	;; [unrolled: 1-line block ×3, first 2 shown]
	s_clause 0x1
	global_load_dwordx2 v[14:15], v8, s[26:27] offset:32 glc dlc
	global_load_dwordx2 v[2:3], v8, s[26:27] offset:40
	s_waitcnt vmcnt(0)
	v_readfirstlane_b32 s10, v2
	v_readfirstlane_b32 s11, v3
	s_and_b64 s[10:11], s[10:11], s[6:7]
	s_mul_i32 s11, s11, 24
	s_mul_hi_u32 s16, s10, 24
	s_mul_i32 s10, s10, 24
	s_add_i32 s16, s16, s11
	v_add_co_u32 v6, vcc_lo, v0, s10
	v_add_co_ci_u32_e32 v7, vcc_lo, s16, v1, vcc_lo
	s_mov_b32 s10, exec_lo
	global_store_dwordx2 v[6:7], v[14:15], off
	s_waitcnt_vscnt null, 0x0
	global_atomic_cmpswap_x2 v[2:3], v8, v[12:15], s[26:27] offset:32 glc
	s_waitcnt vmcnt(0)
	v_cmpx_ne_u64_e64 v[2:3], v[14:15]
	s_cbranch_execz .LBB5_1263
; %bb.1261:
	s_mov_b32 s11, 0
.LBB5_1262:                             ; =>This Inner Loop Header: Depth=1
	v_mov_b32_e32 v0, s6
	v_mov_b32_e32 v1, s7
	s_sleep 1
	global_store_dwordx2 v[6:7], v[2:3], off
	s_waitcnt_vscnt null, 0x0
	global_atomic_cmpswap_x2 v[0:1], v8, v[0:3], s[26:27] offset:32 glc
	s_waitcnt vmcnt(0)
	v_cmp_eq_u64_e32 vcc_lo, v[0:1], v[2:3]
	v_mov_b32_e32 v3, v1
	v_mov_b32_e32 v2, v0
	s_or_b32 s11, vcc_lo, s11
	s_andn2_b32 exec_lo, exec_lo, s11
	s_cbranch_execnz .LBB5_1262
.LBB5_1263:
	s_or_b32 exec_lo, exec_lo, s10
	v_mov_b32_e32 v3, 0
	s_mov_b32 s11, exec_lo
	s_mov_b32 s10, exec_lo
	v_mbcnt_lo_u32_b32 v2, s11, 0
	global_load_dwordx2 v[0:1], v3, s[26:27] offset:16
	v_cmpx_eq_u32_e32 0, v2
	s_cbranch_execz .LBB5_1265
; %bb.1264:
	s_bcnt1_i32_b32 s11, s11
	v_mov_b32_e32 v2, s11
	s_waitcnt vmcnt(0)
	global_atomic_add_x2 v[0:1], v[2:3], off offset:8
.LBB5_1265:
	s_or_b32 exec_lo, exec_lo, s10
	s_waitcnt vmcnt(0)
	global_load_dwordx2 v[2:3], v[0:1], off offset:16
	s_waitcnt vmcnt(0)
	v_cmp_eq_u64_e32 vcc_lo, 0, v[2:3]
	s_cbranch_vccnz .LBB5_1267
; %bb.1266:
	global_load_dword v0, v[0:1], off offset:24
	v_mov_b32_e32 v1, 0
	s_waitcnt vmcnt(0)
	v_and_b32_e32 v6, 0x7fffff, v0
	s_waitcnt_vscnt null, 0x0
	global_store_dwordx2 v[2:3], v[0:1], off
	v_readfirstlane_b32 m0, v6
	s_sendmsg sendmsg(MSG_INTERRUPT)
.LBB5_1267:
	s_or_b32 exec_lo, exec_lo, s5
	s_branch .LBB5_1271
	.p2align	6
.LBB5_1268:                             ;   in Loop: Header=BB5_1271 Depth=1
	s_or_b32 exec_lo, exec_lo, s5
	v_readfirstlane_b32 s5, v0
	s_cmp_eq_u32 s5, 0
	s_cbranch_scc1 .LBB5_1270
; %bb.1269:                             ;   in Loop: Header=BB5_1271 Depth=1
	s_sleep 1
	s_cbranch_execnz .LBB5_1271
	s_branch .LBB5_1273
	.p2align	6
.LBB5_1270:
	s_branch .LBB5_1273
.LBB5_1271:                             ; =>This Inner Loop Header: Depth=1
	v_mov_b32_e32 v0, 1
	s_and_saveexec_b32 s5, s4
	s_cbranch_execz .LBB5_1268
; %bb.1272:                             ;   in Loop: Header=BB5_1271 Depth=1
	global_load_dword v0, v[10:11], off offset:20 glc dlc
	s_waitcnt vmcnt(0)
	buffer_gl1_inv
	buffer_gl0_inv
	v_and_b32_e32 v0, 1, v0
	s_branch .LBB5_1268
.LBB5_1273:
	s_and_saveexec_b32 s5, s4
	s_cbranch_execz .LBB5_1277
; %bb.1274:
	v_mov_b32_e32 v8, 0
	s_clause 0x2
	global_load_dwordx2 v[2:3], v8, s[26:27] offset:40
	global_load_dwordx2 v[9:10], v8, s[26:27] offset:24 glc dlc
	global_load_dwordx2 v[6:7], v8, s[26:27]
	s_waitcnt vmcnt(2)
	v_add_co_u32 v11, vcc_lo, v2, 1
	v_add_co_ci_u32_e32 v12, vcc_lo, 0, v3, vcc_lo
	v_add_co_u32 v0, vcc_lo, v11, s6
	v_add_co_ci_u32_e32 v1, vcc_lo, s7, v12, vcc_lo
	v_cmp_eq_u64_e32 vcc_lo, 0, v[0:1]
	v_cndmask_b32_e32 v1, v1, v12, vcc_lo
	v_cndmask_b32_e32 v0, v0, v11, vcc_lo
	v_and_b32_e32 v3, v1, v3
	v_and_b32_e32 v2, v0, v2
	v_mul_lo_u32 v3, v3, 24
	v_mul_hi_u32 v11, v2, 24
	v_mul_lo_u32 v2, v2, 24
	v_add_nc_u32_e32 v3, v11, v3
	s_waitcnt vmcnt(0)
	v_add_co_u32 v6, vcc_lo, v6, v2
	v_mov_b32_e32 v2, v9
	v_add_co_ci_u32_e32 v7, vcc_lo, v7, v3, vcc_lo
	v_mov_b32_e32 v3, v10
	global_store_dwordx2 v[6:7], v[9:10], off
	s_waitcnt_vscnt null, 0x0
	global_atomic_cmpswap_x2 v[2:3], v8, v[0:3], s[26:27] offset:24 glc
	s_waitcnt vmcnt(0)
	v_cmp_ne_u64_e32 vcc_lo, v[2:3], v[9:10]
	s_and_b32 exec_lo, exec_lo, vcc_lo
	s_cbranch_execz .LBB5_1277
; %bb.1275:
	s_mov_b32 s4, 0
.LBB5_1276:                             ; =>This Inner Loop Header: Depth=1
	s_sleep 1
	global_store_dwordx2 v[6:7], v[2:3], off
	s_waitcnt_vscnt null, 0x0
	global_atomic_cmpswap_x2 v[9:10], v8, v[0:3], s[26:27] offset:24 glc
	s_waitcnt vmcnt(0)
	v_cmp_eq_u64_e32 vcc_lo, v[9:10], v[2:3]
	v_mov_b32_e32 v2, v9
	v_mov_b32_e32 v3, v10
	s_or_b32 s4, vcc_lo, s4
	s_andn2_b32 exec_lo, exec_lo, s4
	s_cbranch_execnz .LBB5_1276
.LBB5_1277:
	s_or_b32 exec_lo, exec_lo, s5
	v_readfirstlane_b32 s4, v49
	v_mov_b32_e32 v8, 0
	v_mov_b32_e32 v9, 0
	v_cmp_eq_u32_e64 s4, s4, v49
	s_and_saveexec_b32 s5, s4
	s_cbranch_execz .LBB5_1283
; %bb.1278:
	v_mov_b32_e32 v0, 0
	s_mov_b32 s6, exec_lo
	global_load_dwordx2 v[10:11], v0, s[26:27] offset:24 glc dlc
	s_waitcnt vmcnt(0)
	buffer_gl1_inv
	buffer_gl0_inv
	s_clause 0x1
	global_load_dwordx2 v[1:2], v0, s[26:27] offset:40
	global_load_dwordx2 v[6:7], v0, s[26:27]
	s_waitcnt vmcnt(1)
	v_and_b32_e32 v2, v2, v11
	v_and_b32_e32 v1, v1, v10
	v_mul_lo_u32 v2, v2, 24
	v_mul_hi_u32 v3, v1, 24
	v_mul_lo_u32 v1, v1, 24
	v_add_nc_u32_e32 v2, v3, v2
	s_waitcnt vmcnt(0)
	v_add_co_u32 v1, vcc_lo, v6, v1
	v_add_co_ci_u32_e32 v2, vcc_lo, v7, v2, vcc_lo
	global_load_dwordx2 v[8:9], v[1:2], off glc dlc
	s_waitcnt vmcnt(0)
	global_atomic_cmpswap_x2 v[8:9], v0, v[8:11], s[26:27] offset:24 glc
	s_waitcnt vmcnt(0)
	buffer_gl1_inv
	buffer_gl0_inv
	v_cmpx_ne_u64_e64 v[8:9], v[10:11]
	s_cbranch_execz .LBB5_1282
; %bb.1279:
	s_mov_b32 s7, 0
	.p2align	6
.LBB5_1280:                             ; =>This Inner Loop Header: Depth=1
	s_sleep 1
	s_clause 0x1
	global_load_dwordx2 v[1:2], v0, s[26:27] offset:40
	global_load_dwordx2 v[6:7], v0, s[26:27]
	v_mov_b32_e32 v11, v9
	v_mov_b32_e32 v10, v8
	s_waitcnt vmcnt(1)
	v_and_b32_e32 v1, v1, v10
	v_and_b32_e32 v2, v2, v11
	s_waitcnt vmcnt(0)
	v_mad_u64_u32 v[6:7], null, v1, 24, v[6:7]
	v_mov_b32_e32 v1, v7
	v_mad_u64_u32 v[1:2], null, v2, 24, v[1:2]
	v_mov_b32_e32 v7, v1
	global_load_dwordx2 v[8:9], v[6:7], off glc dlc
	s_waitcnt vmcnt(0)
	global_atomic_cmpswap_x2 v[8:9], v0, v[8:11], s[26:27] offset:24 glc
	s_waitcnt vmcnt(0)
	buffer_gl1_inv
	buffer_gl0_inv
	v_cmp_eq_u64_e32 vcc_lo, v[8:9], v[10:11]
	s_or_b32 s7, vcc_lo, s7
	s_andn2_b32 exec_lo, exec_lo, s7
	s_cbranch_execnz .LBB5_1280
; %bb.1281:
	s_or_b32 exec_lo, exec_lo, s7
.LBB5_1282:
	s_or_b32 exec_lo, exec_lo, s6
.LBB5_1283:
	s_or_b32 exec_lo, exec_lo, s5
	v_mov_b32_e32 v7, 0
	v_readfirstlane_b32 s6, v8
	v_readfirstlane_b32 s7, v9
	s_mov_b32 s5, exec_lo
	s_clause 0x1
	global_load_dwordx2 v[10:11], v7, s[26:27] offset:40
	global_load_dwordx4 v[0:3], v7, s[26:27]
	s_waitcnt vmcnt(1)
	v_readfirstlane_b32 s10, v10
	v_readfirstlane_b32 s11, v11
	s_and_b64 s[10:11], s[6:7], s[10:11]
	s_mul_i32 s16, s11, 24
	s_mul_hi_u32 s17, s10, 24
	s_mul_i32 s18, s10, 24
	s_add_i32 s17, s17, s16
	s_waitcnt vmcnt(0)
	v_add_co_u32 v10, vcc_lo, v0, s18
	v_add_co_ci_u32_e32 v11, vcc_lo, s17, v1, vcc_lo
	s_and_saveexec_b32 s16, s4
	s_cbranch_execz .LBB5_1285
; %bb.1284:
	v_mov_b32_e32 v6, s5
	v_mov_b32_e32 v8, 2
	;; [unrolled: 1-line block ×3, first 2 shown]
	global_store_dwordx4 v[10:11], v[6:9], off offset:8
.LBB5_1285:
	s_or_b32 exec_lo, exec_lo, s16
	s_lshl_b64 s[10:11], s[10:11], 12
	s_mov_b32 s16, 0
	v_add_co_u32 v2, vcc_lo, v2, s10
	v_add_co_ci_u32_e32 v3, vcc_lo, s11, v3, vcc_lo
	s_mov_b32 s17, s16
	v_add_co_u32 v12, vcc_lo, v2, v48
	s_mov_b32 s18, s16
	s_mov_b32 s19, s16
	v_mov_b32_e32 v6, 33
	v_mov_b32_e32 v8, v7
	;; [unrolled: 1-line block ×3, first 2 shown]
	v_readfirstlane_b32 s10, v2
	v_readfirstlane_b32 s11, v3
	v_mov_b32_e32 v14, s16
	v_add_co_ci_u32_e32 v13, vcc_lo, 0, v3, vcc_lo
	v_mov_b32_e32 v15, s17
	v_mov_b32_e32 v16, s18
	;; [unrolled: 1-line block ×3, first 2 shown]
	global_store_dwordx4 v48, v[6:9], s[10:11]
	global_store_dwordx4 v48, v[14:17], s[10:11] offset:16
	global_store_dwordx4 v48, v[14:17], s[10:11] offset:32
	;; [unrolled: 1-line block ×3, first 2 shown]
	s_and_saveexec_b32 s5, s4
	s_cbranch_execz .LBB5_1293
; %bb.1286:
	v_mov_b32_e32 v8, 0
	v_mov_b32_e32 v14, s6
	;; [unrolled: 1-line block ×3, first 2 shown]
	s_clause 0x1
	global_load_dwordx2 v[16:17], v8, s[26:27] offset:32 glc dlc
	global_load_dwordx2 v[2:3], v8, s[26:27] offset:40
	s_waitcnt vmcnt(0)
	v_readfirstlane_b32 s10, v2
	v_readfirstlane_b32 s11, v3
	s_and_b64 s[10:11], s[10:11], s[6:7]
	s_mul_i32 s11, s11, 24
	s_mul_hi_u32 s16, s10, 24
	s_mul_i32 s10, s10, 24
	s_add_i32 s16, s16, s11
	v_add_co_u32 v6, vcc_lo, v0, s10
	v_add_co_ci_u32_e32 v7, vcc_lo, s16, v1, vcc_lo
	s_mov_b32 s10, exec_lo
	global_store_dwordx2 v[6:7], v[16:17], off
	s_waitcnt_vscnt null, 0x0
	global_atomic_cmpswap_x2 v[2:3], v8, v[14:17], s[26:27] offset:32 glc
	s_waitcnt vmcnt(0)
	v_cmpx_ne_u64_e64 v[2:3], v[16:17]
	s_cbranch_execz .LBB5_1289
; %bb.1287:
	s_mov_b32 s11, 0
.LBB5_1288:                             ; =>This Inner Loop Header: Depth=1
	v_mov_b32_e32 v0, s6
	v_mov_b32_e32 v1, s7
	s_sleep 1
	global_store_dwordx2 v[6:7], v[2:3], off
	s_waitcnt_vscnt null, 0x0
	global_atomic_cmpswap_x2 v[0:1], v8, v[0:3], s[26:27] offset:32 glc
	s_waitcnt vmcnt(0)
	v_cmp_eq_u64_e32 vcc_lo, v[0:1], v[2:3]
	v_mov_b32_e32 v3, v1
	v_mov_b32_e32 v2, v0
	s_or_b32 s11, vcc_lo, s11
	s_andn2_b32 exec_lo, exec_lo, s11
	s_cbranch_execnz .LBB5_1288
.LBB5_1289:
	s_or_b32 exec_lo, exec_lo, s10
	v_mov_b32_e32 v3, 0
	s_mov_b32 s11, exec_lo
	s_mov_b32 s10, exec_lo
	v_mbcnt_lo_u32_b32 v2, s11, 0
	global_load_dwordx2 v[0:1], v3, s[26:27] offset:16
	v_cmpx_eq_u32_e32 0, v2
	s_cbranch_execz .LBB5_1291
; %bb.1290:
	s_bcnt1_i32_b32 s11, s11
	v_mov_b32_e32 v2, s11
	s_waitcnt vmcnt(0)
	global_atomic_add_x2 v[0:1], v[2:3], off offset:8
.LBB5_1291:
	s_or_b32 exec_lo, exec_lo, s10
	s_waitcnt vmcnt(0)
	global_load_dwordx2 v[2:3], v[0:1], off offset:16
	s_waitcnt vmcnt(0)
	v_cmp_eq_u64_e32 vcc_lo, 0, v[2:3]
	s_cbranch_vccnz .LBB5_1293
; %bb.1292:
	global_load_dword v0, v[0:1], off offset:24
	v_mov_b32_e32 v1, 0
	s_waitcnt vmcnt(0)
	v_and_b32_e32 v6, 0x7fffff, v0
	s_waitcnt_vscnt null, 0x0
	global_store_dwordx2 v[2:3], v[0:1], off
	v_readfirstlane_b32 m0, v6
	s_sendmsg sendmsg(MSG_INTERRUPT)
.LBB5_1293:
	s_or_b32 exec_lo, exec_lo, s5
	s_branch .LBB5_1297
	.p2align	6
.LBB5_1294:                             ;   in Loop: Header=BB5_1297 Depth=1
	s_or_b32 exec_lo, exec_lo, s5
	v_readfirstlane_b32 s5, v0
	s_cmp_eq_u32 s5, 0
	s_cbranch_scc1 .LBB5_1296
; %bb.1295:                             ;   in Loop: Header=BB5_1297 Depth=1
	s_sleep 1
	s_cbranch_execnz .LBB5_1297
	s_branch .LBB5_1299
	.p2align	6
.LBB5_1296:
	s_branch .LBB5_1299
.LBB5_1297:                             ; =>This Inner Loop Header: Depth=1
	v_mov_b32_e32 v0, 1
	s_and_saveexec_b32 s5, s4
	s_cbranch_execz .LBB5_1294
; %bb.1298:                             ;   in Loop: Header=BB5_1297 Depth=1
	global_load_dword v0, v[10:11], off offset:20 glc dlc
	s_waitcnt vmcnt(0)
	buffer_gl1_inv
	buffer_gl0_inv
	v_and_b32_e32 v0, 1, v0
	s_branch .LBB5_1294
.LBB5_1299:
	global_load_dwordx2 v[6:7], v[12:13], off
	s_and_saveexec_b32 s5, s4
	s_cbranch_execz .LBB5_1303
; %bb.1300:
	v_mov_b32_e32 v10, 0
	s_clause 0x2
	global_load_dwordx2 v[2:3], v10, s[26:27] offset:40
	global_load_dwordx2 v[11:12], v10, s[26:27] offset:24 glc dlc
	global_load_dwordx2 v[8:9], v10, s[26:27]
	s_waitcnt vmcnt(2)
	v_add_co_u32 v13, vcc_lo, v2, 1
	v_add_co_ci_u32_e32 v14, vcc_lo, 0, v3, vcc_lo
	v_add_co_u32 v0, vcc_lo, v13, s6
	v_add_co_ci_u32_e32 v1, vcc_lo, s7, v14, vcc_lo
	v_cmp_eq_u64_e32 vcc_lo, 0, v[0:1]
	v_cndmask_b32_e32 v1, v1, v14, vcc_lo
	v_cndmask_b32_e32 v0, v0, v13, vcc_lo
	v_and_b32_e32 v3, v1, v3
	v_and_b32_e32 v2, v0, v2
	v_mul_lo_u32 v3, v3, 24
	v_mul_hi_u32 v13, v2, 24
	v_mul_lo_u32 v2, v2, 24
	v_add_nc_u32_e32 v3, v13, v3
	s_waitcnt vmcnt(0)
	v_add_co_u32 v8, vcc_lo, v8, v2
	v_mov_b32_e32 v2, v11
	v_add_co_ci_u32_e32 v9, vcc_lo, v9, v3, vcc_lo
	v_mov_b32_e32 v3, v12
	global_store_dwordx2 v[8:9], v[11:12], off
	s_waitcnt_vscnt null, 0x0
	global_atomic_cmpswap_x2 v[2:3], v10, v[0:3], s[26:27] offset:24 glc
	s_waitcnt vmcnt(0)
	v_cmp_ne_u64_e32 vcc_lo, v[2:3], v[11:12]
	s_and_b32 exec_lo, exec_lo, vcc_lo
	s_cbranch_execz .LBB5_1303
; %bb.1301:
	s_mov_b32 s4, 0
.LBB5_1302:                             ; =>This Inner Loop Header: Depth=1
	s_sleep 1
	global_store_dwordx2 v[8:9], v[2:3], off
	s_waitcnt_vscnt null, 0x0
	global_atomic_cmpswap_x2 v[11:12], v10, v[0:3], s[26:27] offset:24 glc
	s_waitcnt vmcnt(0)
	v_cmp_eq_u64_e32 vcc_lo, v[11:12], v[2:3]
	v_mov_b32_e32 v2, v11
	v_mov_b32_e32 v3, v12
	s_or_b32 s4, vcc_lo, s4
	s_andn2_b32 exec_lo, exec_lo, s4
	s_cbranch_execnz .LBB5_1302
.LBB5_1303:
	s_or_b32 exec_lo, exec_lo, s5
	s_and_b32 vcc_lo, exec_lo, s15
	s_cbranch_vccz .LBB5_1382
; %bb.1304:
	s_waitcnt vmcnt(0)
	v_and_b32_e32 v30, 2, v6
	v_mov_b32_e32 v9, 0
	v_and_b32_e32 v0, -3, v6
	v_mov_b32_e32 v1, v7
	v_mov_b32_e32 v10, 2
	;; [unrolled: 1-line block ×3, first 2 shown]
	s_mov_b64 s[10:11], 3
	s_getpc_b64 s[6:7]
	s_add_u32 s6, s6, .str.8@rel32@lo+4
	s_addc_u32 s7, s7, .str.8@rel32@hi+12
	s_branch .LBB5_1306
.LBB5_1305:                             ;   in Loop: Header=BB5_1306 Depth=1
	s_or_b32 exec_lo, exec_lo, s5
	s_sub_u32 s10, s10, s16
	s_subb_u32 s11, s11, s17
	s_add_u32 s6, s6, s16
	s_addc_u32 s7, s7, s17
	s_cmp_lg_u64 s[10:11], 0
	s_cbranch_scc0 .LBB5_1381
.LBB5_1306:                             ; =>This Loop Header: Depth=1
                                        ;     Child Loop BB5_1315 Depth 2
                                        ;     Child Loop BB5_1311 Depth 2
	;; [unrolled: 1-line block ×11, first 2 shown]
	v_cmp_lt_u64_e64 s4, s[10:11], 56
	v_cmp_gt_u64_e64 s5, s[10:11], 7
                                        ; implicit-def: $vgpr2_vgpr3
                                        ; implicit-def: $sgpr15
	s_and_b32 s4, s4, exec_lo
	s_cselect_b32 s17, s11, 0
	s_cselect_b32 s16, s10, 56
	s_and_b32 vcc_lo, exec_lo, s5
	s_mov_b32 s4, -1
	s_cbranch_vccz .LBB5_1313
; %bb.1307:                             ;   in Loop: Header=BB5_1306 Depth=1
	s_andn2_b32 vcc_lo, exec_lo, s4
	s_mov_b64 s[4:5], s[6:7]
	s_cbranch_vccz .LBB5_1317
.LBB5_1308:                             ;   in Loop: Header=BB5_1306 Depth=1
	s_cmp_gt_u32 s15, 7
	s_cbranch_scc1 .LBB5_1318
.LBB5_1309:                             ;   in Loop: Header=BB5_1306 Depth=1
	v_mov_b32_e32 v12, 0
	v_mov_b32_e32 v13, 0
	s_cmp_eq_u32 s15, 0
	s_cbranch_scc1 .LBB5_1312
; %bb.1310:                             ;   in Loop: Header=BB5_1306 Depth=1
	s_mov_b64 s[18:19], 0
	s_mov_b64 s[20:21], 0
.LBB5_1311:                             ;   Parent Loop BB5_1306 Depth=1
                                        ; =>  This Inner Loop Header: Depth=2
	s_add_u32 s22, s4, s20
	s_addc_u32 s23, s5, s21
	s_add_u32 s20, s20, 1
	global_load_ubyte v8, v9, s[22:23]
	s_addc_u32 s21, s21, 0
	s_waitcnt vmcnt(0)
	v_and_b32_e32 v8, 0xffff, v8
	v_lshlrev_b64 v[14:15], s18, v[8:9]
	s_add_u32 s18, s18, 8
	s_addc_u32 s19, s19, 0
	s_cmp_lg_u32 s15, s20
	v_or_b32_e32 v12, v14, v12
	v_or_b32_e32 v13, v15, v13
	s_cbranch_scc1 .LBB5_1311
.LBB5_1312:                             ;   in Loop: Header=BB5_1306 Depth=1
	s_mov_b32 s22, 0
	s_cbranch_execz .LBB5_1319
	s_branch .LBB5_1320
.LBB5_1313:                             ;   in Loop: Header=BB5_1306 Depth=1
	s_waitcnt vmcnt(0)
	v_mov_b32_e32 v2, 0
	v_mov_b32_e32 v3, 0
	s_cmp_eq_u64 s[10:11], 0
	s_mov_b64 s[4:5], 0
	s_cbranch_scc1 .LBB5_1316
; %bb.1314:                             ;   in Loop: Header=BB5_1306 Depth=1
	v_mov_b32_e32 v2, 0
	v_mov_b32_e32 v3, 0
	s_lshl_b64 s[18:19], s[16:17], 3
	s_mov_b64 s[20:21], s[6:7]
.LBB5_1315:                             ;   Parent Loop BB5_1306 Depth=1
                                        ; =>  This Inner Loop Header: Depth=2
	global_load_ubyte v8, v9, s[20:21]
	s_waitcnt vmcnt(0)
	v_and_b32_e32 v8, 0xffff, v8
	v_lshlrev_b64 v[12:13], s4, v[8:9]
	s_add_u32 s4, s4, 8
	s_addc_u32 s5, s5, 0
	s_add_u32 s20, s20, 1
	s_addc_u32 s21, s21, 0
	s_cmp_lg_u32 s18, s4
	v_or_b32_e32 v2, v12, v2
	v_or_b32_e32 v3, v13, v3
	s_cbranch_scc1 .LBB5_1315
.LBB5_1316:                             ;   in Loop: Header=BB5_1306 Depth=1
	s_mov_b32 s15, 0
	s_mov_b64 s[4:5], s[6:7]
	s_cbranch_execnz .LBB5_1308
.LBB5_1317:                             ;   in Loop: Header=BB5_1306 Depth=1
	global_load_dwordx2 v[2:3], v9, s[6:7]
	s_add_i32 s15, s16, -8
	s_add_u32 s4, s6, 8
	s_addc_u32 s5, s7, 0
	s_cmp_gt_u32 s15, 7
	s_cbranch_scc0 .LBB5_1309
.LBB5_1318:                             ;   in Loop: Header=BB5_1306 Depth=1
                                        ; implicit-def: $vgpr12_vgpr13
                                        ; implicit-def: $sgpr22
.LBB5_1319:                             ;   in Loop: Header=BB5_1306 Depth=1
	global_load_dwordx2 v[12:13], v9, s[4:5]
	s_add_i32 s22, s15, -8
	s_add_u32 s4, s4, 8
	s_addc_u32 s5, s5, 0
.LBB5_1320:                             ;   in Loop: Header=BB5_1306 Depth=1
	s_cmp_gt_u32 s22, 7
	s_cbranch_scc1 .LBB5_1325
; %bb.1321:                             ;   in Loop: Header=BB5_1306 Depth=1
	v_mov_b32_e32 v14, 0
	v_mov_b32_e32 v15, 0
	s_cmp_eq_u32 s22, 0
	s_cbranch_scc1 .LBB5_1324
; %bb.1322:                             ;   in Loop: Header=BB5_1306 Depth=1
	s_mov_b64 s[18:19], 0
	s_mov_b64 s[20:21], 0
.LBB5_1323:                             ;   Parent Loop BB5_1306 Depth=1
                                        ; =>  This Inner Loop Header: Depth=2
	s_add_u32 s24, s4, s20
	s_addc_u32 s25, s5, s21
	s_add_u32 s20, s20, 1
	global_load_ubyte v8, v9, s[24:25]
	s_addc_u32 s21, s21, 0
	s_waitcnt vmcnt(0)
	v_and_b32_e32 v8, 0xffff, v8
	v_lshlrev_b64 v[16:17], s18, v[8:9]
	s_add_u32 s18, s18, 8
	s_addc_u32 s19, s19, 0
	s_cmp_lg_u32 s22, s20
	v_or_b32_e32 v14, v16, v14
	v_or_b32_e32 v15, v17, v15
	s_cbranch_scc1 .LBB5_1323
.LBB5_1324:                             ;   in Loop: Header=BB5_1306 Depth=1
	s_mov_b32 s15, 0
	s_cbranch_execz .LBB5_1326
	s_branch .LBB5_1327
.LBB5_1325:                             ;   in Loop: Header=BB5_1306 Depth=1
                                        ; implicit-def: $sgpr15
.LBB5_1326:                             ;   in Loop: Header=BB5_1306 Depth=1
	global_load_dwordx2 v[14:15], v9, s[4:5]
	s_add_i32 s15, s22, -8
	s_add_u32 s4, s4, 8
	s_addc_u32 s5, s5, 0
.LBB5_1327:                             ;   in Loop: Header=BB5_1306 Depth=1
	s_cmp_gt_u32 s15, 7
	s_cbranch_scc1 .LBB5_1332
; %bb.1328:                             ;   in Loop: Header=BB5_1306 Depth=1
	v_mov_b32_e32 v16, 0
	v_mov_b32_e32 v17, 0
	s_cmp_eq_u32 s15, 0
	s_cbranch_scc1 .LBB5_1331
; %bb.1329:                             ;   in Loop: Header=BB5_1306 Depth=1
	s_mov_b64 s[18:19], 0
	s_mov_b64 s[20:21], 0
.LBB5_1330:                             ;   Parent Loop BB5_1306 Depth=1
                                        ; =>  This Inner Loop Header: Depth=2
	s_add_u32 s22, s4, s20
	s_addc_u32 s23, s5, s21
	s_add_u32 s20, s20, 1
	global_load_ubyte v8, v9, s[22:23]
	s_addc_u32 s21, s21, 0
	s_waitcnt vmcnt(0)
	v_and_b32_e32 v8, 0xffff, v8
	v_lshlrev_b64 v[18:19], s18, v[8:9]
	s_add_u32 s18, s18, 8
	s_addc_u32 s19, s19, 0
	s_cmp_lg_u32 s15, s20
	v_or_b32_e32 v16, v18, v16
	v_or_b32_e32 v17, v19, v17
	s_cbranch_scc1 .LBB5_1330
.LBB5_1331:                             ;   in Loop: Header=BB5_1306 Depth=1
	s_mov_b32 s22, 0
	s_cbranch_execz .LBB5_1333
	s_branch .LBB5_1334
.LBB5_1332:                             ;   in Loop: Header=BB5_1306 Depth=1
                                        ; implicit-def: $vgpr16_vgpr17
                                        ; implicit-def: $sgpr22
.LBB5_1333:                             ;   in Loop: Header=BB5_1306 Depth=1
	global_load_dwordx2 v[16:17], v9, s[4:5]
	s_add_i32 s22, s15, -8
	s_add_u32 s4, s4, 8
	s_addc_u32 s5, s5, 0
.LBB5_1334:                             ;   in Loop: Header=BB5_1306 Depth=1
	s_cmp_gt_u32 s22, 7
	s_cbranch_scc1 .LBB5_1339
; %bb.1335:                             ;   in Loop: Header=BB5_1306 Depth=1
	v_mov_b32_e32 v18, 0
	v_mov_b32_e32 v19, 0
	s_cmp_eq_u32 s22, 0
	s_cbranch_scc1 .LBB5_1338
; %bb.1336:                             ;   in Loop: Header=BB5_1306 Depth=1
	s_mov_b64 s[18:19], 0
	s_mov_b64 s[20:21], 0
.LBB5_1337:                             ;   Parent Loop BB5_1306 Depth=1
                                        ; =>  This Inner Loop Header: Depth=2
	s_add_u32 s24, s4, s20
	s_addc_u32 s25, s5, s21
	s_add_u32 s20, s20, 1
	global_load_ubyte v8, v9, s[24:25]
	s_addc_u32 s21, s21, 0
	s_waitcnt vmcnt(0)
	v_and_b32_e32 v8, 0xffff, v8
	v_lshlrev_b64 v[20:21], s18, v[8:9]
	s_add_u32 s18, s18, 8
	s_addc_u32 s19, s19, 0
	s_cmp_lg_u32 s22, s20
	v_or_b32_e32 v18, v20, v18
	v_or_b32_e32 v19, v21, v19
	s_cbranch_scc1 .LBB5_1337
.LBB5_1338:                             ;   in Loop: Header=BB5_1306 Depth=1
	s_mov_b32 s15, 0
	s_cbranch_execz .LBB5_1340
	s_branch .LBB5_1341
.LBB5_1339:                             ;   in Loop: Header=BB5_1306 Depth=1
                                        ; implicit-def: $sgpr15
.LBB5_1340:                             ;   in Loop: Header=BB5_1306 Depth=1
	global_load_dwordx2 v[18:19], v9, s[4:5]
	s_add_i32 s15, s22, -8
	s_add_u32 s4, s4, 8
	s_addc_u32 s5, s5, 0
.LBB5_1341:                             ;   in Loop: Header=BB5_1306 Depth=1
	s_cmp_gt_u32 s15, 7
	s_cbranch_scc1 .LBB5_1346
; %bb.1342:                             ;   in Loop: Header=BB5_1306 Depth=1
	v_mov_b32_e32 v20, 0
	v_mov_b32_e32 v21, 0
	s_cmp_eq_u32 s15, 0
	s_cbranch_scc1 .LBB5_1345
; %bb.1343:                             ;   in Loop: Header=BB5_1306 Depth=1
	s_mov_b64 s[18:19], 0
	s_mov_b64 s[20:21], 0
.LBB5_1344:                             ;   Parent Loop BB5_1306 Depth=1
                                        ; =>  This Inner Loop Header: Depth=2
	s_add_u32 s22, s4, s20
	s_addc_u32 s23, s5, s21
	s_add_u32 s20, s20, 1
	global_load_ubyte v8, v9, s[22:23]
	s_addc_u32 s21, s21, 0
	s_waitcnt vmcnt(0)
	v_and_b32_e32 v8, 0xffff, v8
	v_lshlrev_b64 v[22:23], s18, v[8:9]
	s_add_u32 s18, s18, 8
	s_addc_u32 s19, s19, 0
	s_cmp_lg_u32 s15, s20
	v_or_b32_e32 v20, v22, v20
	v_or_b32_e32 v21, v23, v21
	s_cbranch_scc1 .LBB5_1344
.LBB5_1345:                             ;   in Loop: Header=BB5_1306 Depth=1
	s_mov_b32 s22, 0
	s_cbranch_execz .LBB5_1347
	s_branch .LBB5_1348
.LBB5_1346:                             ;   in Loop: Header=BB5_1306 Depth=1
                                        ; implicit-def: $vgpr20_vgpr21
                                        ; implicit-def: $sgpr22
.LBB5_1347:                             ;   in Loop: Header=BB5_1306 Depth=1
	global_load_dwordx2 v[20:21], v9, s[4:5]
	s_add_i32 s22, s15, -8
	s_add_u32 s4, s4, 8
	s_addc_u32 s5, s5, 0
.LBB5_1348:                             ;   in Loop: Header=BB5_1306 Depth=1
	s_cmp_gt_u32 s22, 7
	s_cbranch_scc1 .LBB5_1353
; %bb.1349:                             ;   in Loop: Header=BB5_1306 Depth=1
	v_mov_b32_e32 v22, 0
	v_mov_b32_e32 v23, 0
	s_cmp_eq_u32 s22, 0
	s_cbranch_scc1 .LBB5_1352
; %bb.1350:                             ;   in Loop: Header=BB5_1306 Depth=1
	s_mov_b64 s[18:19], 0
	s_mov_b64 s[20:21], s[4:5]
.LBB5_1351:                             ;   Parent Loop BB5_1306 Depth=1
                                        ; =>  This Inner Loop Header: Depth=2
	global_load_ubyte v8, v9, s[20:21]
	s_add_i32 s22, s22, -1
	s_waitcnt vmcnt(0)
	v_and_b32_e32 v8, 0xffff, v8
	v_lshlrev_b64 v[24:25], s18, v[8:9]
	s_add_u32 s18, s18, 8
	s_addc_u32 s19, s19, 0
	s_add_u32 s20, s20, 1
	s_addc_u32 s21, s21, 0
	s_cmp_lg_u32 s22, 0
	v_or_b32_e32 v22, v24, v22
	v_or_b32_e32 v23, v25, v23
	s_cbranch_scc1 .LBB5_1351
.LBB5_1352:                             ;   in Loop: Header=BB5_1306 Depth=1
	s_cbranch_execz .LBB5_1354
	s_branch .LBB5_1355
.LBB5_1353:                             ;   in Loop: Header=BB5_1306 Depth=1
.LBB5_1354:                             ;   in Loop: Header=BB5_1306 Depth=1
	global_load_dwordx2 v[22:23], v9, s[4:5]
.LBB5_1355:                             ;   in Loop: Header=BB5_1306 Depth=1
	v_readfirstlane_b32 s4, v49
	v_mov_b32_e32 v28, 0
	v_mov_b32_e32 v29, 0
	v_cmp_eq_u32_e64 s4, s4, v49
	s_and_saveexec_b32 s5, s4
	s_cbranch_execz .LBB5_1361
; %bb.1356:                             ;   in Loop: Header=BB5_1306 Depth=1
	global_load_dwordx2 v[26:27], v9, s[26:27] offset:24 glc dlc
	s_waitcnt vmcnt(0)
	buffer_gl1_inv
	buffer_gl0_inv
	s_clause 0x1
	global_load_dwordx2 v[24:25], v9, s[26:27] offset:40
	global_load_dwordx2 v[28:29], v9, s[26:27]
	s_mov_b32 s15, exec_lo
	s_waitcnt vmcnt(1)
	v_and_b32_e32 v8, v25, v27
	v_and_b32_e32 v24, v24, v26
	v_mul_lo_u32 v8, v8, 24
	v_mul_hi_u32 v25, v24, 24
	v_mul_lo_u32 v24, v24, 24
	v_add_nc_u32_e32 v8, v25, v8
	s_waitcnt vmcnt(0)
	v_add_co_u32 v24, vcc_lo, v28, v24
	v_add_co_ci_u32_e32 v25, vcc_lo, v29, v8, vcc_lo
	global_load_dwordx2 v[24:25], v[24:25], off glc dlc
	s_waitcnt vmcnt(0)
	global_atomic_cmpswap_x2 v[28:29], v9, v[24:27], s[26:27] offset:24 glc
	s_waitcnt vmcnt(0)
	buffer_gl1_inv
	buffer_gl0_inv
	v_cmpx_ne_u64_e64 v[28:29], v[26:27]
	s_cbranch_execz .LBB5_1360
; %bb.1357:                             ;   in Loop: Header=BB5_1306 Depth=1
	s_mov_b32 s18, 0
	.p2align	6
.LBB5_1358:                             ;   Parent Loop BB5_1306 Depth=1
                                        ; =>  This Inner Loop Header: Depth=2
	s_sleep 1
	s_clause 0x1
	global_load_dwordx2 v[24:25], v9, s[26:27] offset:40
	global_load_dwordx2 v[31:32], v9, s[26:27]
	v_mov_b32_e32 v26, v28
	v_mov_b32_e32 v27, v29
	s_waitcnt vmcnt(1)
	v_and_b32_e32 v8, v24, v26
	v_and_b32_e32 v24, v25, v27
	s_waitcnt vmcnt(0)
	v_mad_u64_u32 v[28:29], null, v8, 24, v[31:32]
	v_mov_b32_e32 v8, v29
	v_mad_u64_u32 v[24:25], null, v24, 24, v[8:9]
	v_mov_b32_e32 v29, v24
	global_load_dwordx2 v[24:25], v[28:29], off glc dlc
	s_waitcnt vmcnt(0)
	global_atomic_cmpswap_x2 v[28:29], v9, v[24:27], s[26:27] offset:24 glc
	s_waitcnt vmcnt(0)
	buffer_gl1_inv
	buffer_gl0_inv
	v_cmp_eq_u64_e32 vcc_lo, v[28:29], v[26:27]
	s_or_b32 s18, vcc_lo, s18
	s_andn2_b32 exec_lo, exec_lo, s18
	s_cbranch_execnz .LBB5_1358
; %bb.1359:                             ;   in Loop: Header=BB5_1306 Depth=1
	s_or_b32 exec_lo, exec_lo, s18
.LBB5_1360:                             ;   in Loop: Header=BB5_1306 Depth=1
	s_or_b32 exec_lo, exec_lo, s15
.LBB5_1361:                             ;   in Loop: Header=BB5_1306 Depth=1
	s_or_b32 exec_lo, exec_lo, s5
	s_clause 0x1
	global_load_dwordx2 v[31:32], v9, s[26:27] offset:40
	global_load_dwordx4 v[24:27], v9, s[26:27]
	v_readfirstlane_b32 s18, v28
	v_readfirstlane_b32 s19, v29
	s_mov_b32 s5, exec_lo
	s_waitcnt vmcnt(1)
	v_readfirstlane_b32 s20, v31
	v_readfirstlane_b32 s21, v32
	s_and_b64 s[20:21], s[18:19], s[20:21]
	s_mul_i32 s15, s21, 24
	s_mul_hi_u32 s22, s20, 24
	s_mul_i32 s23, s20, 24
	s_add_i32 s22, s22, s15
	s_waitcnt vmcnt(0)
	v_add_co_u32 v28, vcc_lo, v24, s23
	v_add_co_ci_u32_e32 v29, vcc_lo, s22, v25, vcc_lo
	s_and_saveexec_b32 s15, s4
	s_cbranch_execz .LBB5_1363
; %bb.1362:                             ;   in Loop: Header=BB5_1306 Depth=1
	v_mov_b32_e32 v8, s5
	global_store_dwordx4 v[28:29], v[8:11], off offset:8
.LBB5_1363:                             ;   in Loop: Header=BB5_1306 Depth=1
	s_or_b32 exec_lo, exec_lo, s15
	s_lshl_b64 s[20:21], s[20:21], 12
	v_cmp_gt_u64_e64 vcc_lo, s[10:11], 56
	v_or_b32_e32 v31, v0, v30
	v_add_co_u32 v26, s5, v26, s20
	v_add_co_ci_u32_e64 v27, s5, s21, v27, s5
	s_lshl_b32 s5, s16, 2
	v_or_b32_e32 v8, 0, v1
	v_cndmask_b32_e32 v0, v31, v0, vcc_lo
	s_add_i32 s5, s5, 28
	v_readfirstlane_b32 s20, v26
	s_and_b32 s5, s5, 0x1e0
	v_cndmask_b32_e32 v1, v8, v1, vcc_lo
	v_readfirstlane_b32 s21, v27
	v_and_or_b32 v0, 0xffffff1f, v0, s5
	global_store_dwordx4 v48, v[0:3], s[20:21]
	global_store_dwordx4 v48, v[12:15], s[20:21] offset:16
	global_store_dwordx4 v48, v[16:19], s[20:21] offset:32
	;; [unrolled: 1-line block ×3, first 2 shown]
	s_and_saveexec_b32 s5, s4
	s_cbranch_execz .LBB5_1371
; %bb.1364:                             ;   in Loop: Header=BB5_1306 Depth=1
	s_clause 0x1
	global_load_dwordx2 v[16:17], v9, s[26:27] offset:32 glc dlc
	global_load_dwordx2 v[0:1], v9, s[26:27] offset:40
	v_mov_b32_e32 v14, s18
	v_mov_b32_e32 v15, s19
	s_waitcnt vmcnt(0)
	v_readfirstlane_b32 s20, v0
	v_readfirstlane_b32 s21, v1
	s_and_b64 s[20:21], s[20:21], s[18:19]
	s_mul_i32 s15, s21, 24
	s_mul_hi_u32 s21, s20, 24
	s_mul_i32 s20, s20, 24
	s_add_i32 s21, s21, s15
	v_add_co_u32 v12, vcc_lo, v24, s20
	v_add_co_ci_u32_e32 v13, vcc_lo, s21, v25, vcc_lo
	s_mov_b32 s15, exec_lo
	global_store_dwordx2 v[12:13], v[16:17], off
	s_waitcnt_vscnt null, 0x0
	global_atomic_cmpswap_x2 v[2:3], v9, v[14:17], s[26:27] offset:32 glc
	s_waitcnt vmcnt(0)
	v_cmpx_ne_u64_e64 v[2:3], v[16:17]
	s_cbranch_execz .LBB5_1367
; %bb.1365:                             ;   in Loop: Header=BB5_1306 Depth=1
	s_mov_b32 s20, 0
.LBB5_1366:                             ;   Parent Loop BB5_1306 Depth=1
                                        ; =>  This Inner Loop Header: Depth=2
	v_mov_b32_e32 v0, s18
	v_mov_b32_e32 v1, s19
	s_sleep 1
	global_store_dwordx2 v[12:13], v[2:3], off
	s_waitcnt_vscnt null, 0x0
	global_atomic_cmpswap_x2 v[0:1], v9, v[0:3], s[26:27] offset:32 glc
	s_waitcnt vmcnt(0)
	v_cmp_eq_u64_e32 vcc_lo, v[0:1], v[2:3]
	v_mov_b32_e32 v3, v1
	v_mov_b32_e32 v2, v0
	s_or_b32 s20, vcc_lo, s20
	s_andn2_b32 exec_lo, exec_lo, s20
	s_cbranch_execnz .LBB5_1366
.LBB5_1367:                             ;   in Loop: Header=BB5_1306 Depth=1
	s_or_b32 exec_lo, exec_lo, s15
	global_load_dwordx2 v[0:1], v9, s[26:27] offset:16
	s_mov_b32 s20, exec_lo
	s_mov_b32 s15, exec_lo
	v_mbcnt_lo_u32_b32 v2, s20, 0
	v_cmpx_eq_u32_e32 0, v2
	s_cbranch_execz .LBB5_1369
; %bb.1368:                             ;   in Loop: Header=BB5_1306 Depth=1
	s_bcnt1_i32_b32 s20, s20
	v_mov_b32_e32 v8, s20
	s_waitcnt vmcnt(0)
	global_atomic_add_x2 v[0:1], v[8:9], off offset:8
.LBB5_1369:                             ;   in Loop: Header=BB5_1306 Depth=1
	s_or_b32 exec_lo, exec_lo, s15
	s_waitcnt vmcnt(0)
	global_load_dwordx2 v[2:3], v[0:1], off offset:16
	s_waitcnt vmcnt(0)
	v_cmp_eq_u64_e32 vcc_lo, 0, v[2:3]
	s_cbranch_vccnz .LBB5_1371
; %bb.1370:                             ;   in Loop: Header=BB5_1306 Depth=1
	global_load_dword v8, v[0:1], off offset:24
	s_waitcnt vmcnt(0)
	v_and_b32_e32 v0, 0x7fffff, v8
	s_waitcnt_vscnt null, 0x0
	global_store_dwordx2 v[2:3], v[8:9], off
	v_readfirstlane_b32 m0, v0
	s_sendmsg sendmsg(MSG_INTERRUPT)
.LBB5_1371:                             ;   in Loop: Header=BB5_1306 Depth=1
	s_or_b32 exec_lo, exec_lo, s5
	v_add_co_u32 v0, vcc_lo, v26, v48
	v_add_co_ci_u32_e32 v1, vcc_lo, 0, v27, vcc_lo
	s_branch .LBB5_1375
	.p2align	6
.LBB5_1372:                             ;   in Loop: Header=BB5_1375 Depth=2
	s_or_b32 exec_lo, exec_lo, s5
	v_readfirstlane_b32 s5, v2
	s_cmp_eq_u32 s5, 0
	s_cbranch_scc1 .LBB5_1374
; %bb.1373:                             ;   in Loop: Header=BB5_1375 Depth=2
	s_sleep 1
	s_cbranch_execnz .LBB5_1375
	s_branch .LBB5_1377
	.p2align	6
.LBB5_1374:                             ;   in Loop: Header=BB5_1306 Depth=1
	s_branch .LBB5_1377
.LBB5_1375:                             ;   Parent Loop BB5_1306 Depth=1
                                        ; =>  This Inner Loop Header: Depth=2
	v_mov_b32_e32 v2, 1
	s_and_saveexec_b32 s5, s4
	s_cbranch_execz .LBB5_1372
; %bb.1376:                             ;   in Loop: Header=BB5_1375 Depth=2
	global_load_dword v2, v[28:29], off offset:20 glc dlc
	s_waitcnt vmcnt(0)
	buffer_gl1_inv
	buffer_gl0_inv
	v_and_b32_e32 v2, 1, v2
	s_branch .LBB5_1372
.LBB5_1377:                             ;   in Loop: Header=BB5_1306 Depth=1
	global_load_dwordx4 v[0:3], v[0:1], off
	s_and_saveexec_b32 s5, s4
	s_cbranch_execz .LBB5_1305
; %bb.1378:                             ;   in Loop: Header=BB5_1306 Depth=1
	s_clause 0x2
	global_load_dwordx2 v[2:3], v9, s[26:27] offset:40
	global_load_dwordx2 v[16:17], v9, s[26:27] offset:24 glc dlc
	global_load_dwordx2 v[14:15], v9, s[26:27]
	s_waitcnt vmcnt(2)
	v_add_co_u32 v8, vcc_lo, v2, 1
	v_add_co_ci_u32_e32 v18, vcc_lo, 0, v3, vcc_lo
	v_add_co_u32 v12, vcc_lo, v8, s18
	v_add_co_ci_u32_e32 v13, vcc_lo, s19, v18, vcc_lo
	v_cmp_eq_u64_e32 vcc_lo, 0, v[12:13]
	v_cndmask_b32_e32 v13, v13, v18, vcc_lo
	v_cndmask_b32_e32 v12, v12, v8, vcc_lo
	v_and_b32_e32 v3, v13, v3
	v_and_b32_e32 v2, v12, v2
	v_mul_lo_u32 v3, v3, 24
	v_mul_hi_u32 v8, v2, 24
	v_mul_lo_u32 v2, v2, 24
	v_add_nc_u32_e32 v3, v8, v3
	s_waitcnt vmcnt(0)
	v_add_co_u32 v2, vcc_lo, v14, v2
	v_mov_b32_e32 v14, v16
	v_add_co_ci_u32_e32 v3, vcc_lo, v15, v3, vcc_lo
	v_mov_b32_e32 v15, v17
	global_store_dwordx2 v[2:3], v[16:17], off
	s_waitcnt_vscnt null, 0x0
	global_atomic_cmpswap_x2 v[14:15], v9, v[12:15], s[26:27] offset:24 glc
	s_waitcnt vmcnt(0)
	v_cmp_ne_u64_e32 vcc_lo, v[14:15], v[16:17]
	s_and_b32 exec_lo, exec_lo, vcc_lo
	s_cbranch_execz .LBB5_1305
; %bb.1379:                             ;   in Loop: Header=BB5_1306 Depth=1
	s_mov_b32 s4, 0
.LBB5_1380:                             ;   Parent Loop BB5_1306 Depth=1
                                        ; =>  This Inner Loop Header: Depth=2
	s_sleep 1
	global_store_dwordx2 v[2:3], v[14:15], off
	s_waitcnt_vscnt null, 0x0
	global_atomic_cmpswap_x2 v[16:17], v9, v[12:15], s[26:27] offset:24 glc
	s_waitcnt vmcnt(0)
	v_cmp_eq_u64_e32 vcc_lo, v[16:17], v[14:15]
	v_mov_b32_e32 v14, v16
	v_mov_b32_e32 v15, v17
	s_or_b32 s4, vcc_lo, s4
	s_andn2_b32 exec_lo, exec_lo, s4
	s_cbranch_execnz .LBB5_1380
	s_branch .LBB5_1305
.LBB5_1381:
	s_branch .LBB5_1410
.LBB5_1382:
                                        ; implicit-def: $vgpr0_vgpr1
	s_cbranch_execz .LBB5_1410
; %bb.1383:
	v_readfirstlane_b32 s4, v49
	v_mov_b32_e32 v9, 0
	v_mov_b32_e32 v10, 0
	v_cmp_eq_u32_e64 s4, s4, v49
	s_and_saveexec_b32 s5, s4
	s_cbranch_execz .LBB5_1389
; %bb.1384:
	s_waitcnt vmcnt(0)
	v_mov_b32_e32 v0, 0
	s_mov_b32 s6, exec_lo
	global_load_dwordx2 v[11:12], v0, s[26:27] offset:24 glc dlc
	s_waitcnt vmcnt(0)
	buffer_gl1_inv
	buffer_gl0_inv
	s_clause 0x1
	global_load_dwordx2 v[1:2], v0, s[26:27] offset:40
	global_load_dwordx2 v[8:9], v0, s[26:27]
	s_waitcnt vmcnt(1)
	v_and_b32_e32 v2, v2, v12
	v_and_b32_e32 v1, v1, v11
	v_mul_lo_u32 v2, v2, 24
	v_mul_hi_u32 v3, v1, 24
	v_mul_lo_u32 v1, v1, 24
	v_add_nc_u32_e32 v2, v3, v2
	s_waitcnt vmcnt(0)
	v_add_co_u32 v1, vcc_lo, v8, v1
	v_add_co_ci_u32_e32 v2, vcc_lo, v9, v2, vcc_lo
	global_load_dwordx2 v[9:10], v[1:2], off glc dlc
	s_waitcnt vmcnt(0)
	global_atomic_cmpswap_x2 v[9:10], v0, v[9:12], s[26:27] offset:24 glc
	s_waitcnt vmcnt(0)
	buffer_gl1_inv
	buffer_gl0_inv
	v_cmpx_ne_u64_e64 v[9:10], v[11:12]
	s_cbranch_execz .LBB5_1388
; %bb.1385:
	s_mov_b32 s7, 0
	.p2align	6
.LBB5_1386:                             ; =>This Inner Loop Header: Depth=1
	s_sleep 1
	s_clause 0x1
	global_load_dwordx2 v[1:2], v0, s[26:27] offset:40
	global_load_dwordx2 v[13:14], v0, s[26:27]
	v_mov_b32_e32 v12, v10
	v_mov_b32_e32 v11, v9
	s_waitcnt vmcnt(1)
	v_and_b32_e32 v1, v1, v11
	v_and_b32_e32 v2, v2, v12
	s_waitcnt vmcnt(0)
	v_mad_u64_u32 v[8:9], null, v1, 24, v[13:14]
	v_mov_b32_e32 v1, v9
	v_mad_u64_u32 v[1:2], null, v2, 24, v[1:2]
	v_mov_b32_e32 v9, v1
	global_load_dwordx2 v[9:10], v[8:9], off glc dlc
	s_waitcnt vmcnt(0)
	global_atomic_cmpswap_x2 v[9:10], v0, v[9:12], s[26:27] offset:24 glc
	s_waitcnt vmcnt(0)
	buffer_gl1_inv
	buffer_gl0_inv
	v_cmp_eq_u64_e32 vcc_lo, v[9:10], v[11:12]
	s_or_b32 s7, vcc_lo, s7
	s_andn2_b32 exec_lo, exec_lo, s7
	s_cbranch_execnz .LBB5_1386
; %bb.1387:
	s_or_b32 exec_lo, exec_lo, s7
.LBB5_1388:
	s_or_b32 exec_lo, exec_lo, s6
.LBB5_1389:
	s_or_b32 exec_lo, exec_lo, s5
	v_mov_b32_e32 v8, 0
	v_readfirstlane_b32 s6, v9
	v_readfirstlane_b32 s7, v10
	s_mov_b32 s5, exec_lo
	s_clause 0x1
	global_load_dwordx2 v[11:12], v8, s[26:27] offset:40
	global_load_dwordx4 v[0:3], v8, s[26:27]
	s_waitcnt vmcnt(1)
	v_readfirstlane_b32 s10, v11
	v_readfirstlane_b32 s11, v12
	s_and_b64 s[10:11], s[6:7], s[10:11]
	s_mul_i32 s15, s11, 24
	s_mul_hi_u32 s16, s10, 24
	s_mul_i32 s17, s10, 24
	s_add_i32 s16, s16, s15
	s_waitcnt vmcnt(0)
	v_add_co_u32 v10, vcc_lo, v0, s17
	v_add_co_ci_u32_e32 v11, vcc_lo, s16, v1, vcc_lo
	s_and_saveexec_b32 s15, s4
	s_cbranch_execz .LBB5_1391
; %bb.1390:
	v_mov_b32_e32 v12, s5
	v_mov_b32_e32 v13, v8
	;; [unrolled: 1-line block ×4, first 2 shown]
	global_store_dwordx4 v[10:11], v[12:15], off offset:8
.LBB5_1391:
	s_or_b32 exec_lo, exec_lo, s15
	s_lshl_b64 s[10:11], s[10:11], 12
	s_mov_b32 s16, 0
	v_add_co_u32 v2, vcc_lo, v2, s10
	v_add_co_ci_u32_e32 v3, vcc_lo, s11, v3, vcc_lo
	s_mov_b32 s17, s16
	v_add_co_u32 v12, vcc_lo, v2, v48
	s_mov_b32 s18, s16
	s_mov_b32 s19, s16
	v_and_or_b32 v6, 0xffffff1f, v6, 32
	v_mov_b32_e32 v9, v8
	v_readfirstlane_b32 s10, v2
	v_readfirstlane_b32 s11, v3
	v_mov_b32_e32 v14, s16
	v_add_co_ci_u32_e32 v13, vcc_lo, 0, v3, vcc_lo
	v_mov_b32_e32 v15, s17
	v_mov_b32_e32 v16, s18
	;; [unrolled: 1-line block ×3, first 2 shown]
	global_store_dwordx4 v48, v[6:9], s[10:11]
	global_store_dwordx4 v48, v[14:17], s[10:11] offset:16
	global_store_dwordx4 v48, v[14:17], s[10:11] offset:32
	;; [unrolled: 1-line block ×3, first 2 shown]
	s_and_saveexec_b32 s5, s4
	s_cbranch_execz .LBB5_1399
; %bb.1392:
	v_mov_b32_e32 v8, 0
	v_mov_b32_e32 v14, s6
	;; [unrolled: 1-line block ×3, first 2 shown]
	s_clause 0x1
	global_load_dwordx2 v[16:17], v8, s[26:27] offset:32 glc dlc
	global_load_dwordx2 v[2:3], v8, s[26:27] offset:40
	s_waitcnt vmcnt(0)
	v_readfirstlane_b32 s10, v2
	v_readfirstlane_b32 s11, v3
	s_and_b64 s[10:11], s[10:11], s[6:7]
	s_mul_i32 s11, s11, 24
	s_mul_hi_u32 s15, s10, 24
	s_mul_i32 s10, s10, 24
	s_add_i32 s15, s15, s11
	v_add_co_u32 v6, vcc_lo, v0, s10
	v_add_co_ci_u32_e32 v7, vcc_lo, s15, v1, vcc_lo
	s_mov_b32 s10, exec_lo
	global_store_dwordx2 v[6:7], v[16:17], off
	s_waitcnt_vscnt null, 0x0
	global_atomic_cmpswap_x2 v[2:3], v8, v[14:17], s[26:27] offset:32 glc
	s_waitcnt vmcnt(0)
	v_cmpx_ne_u64_e64 v[2:3], v[16:17]
	s_cbranch_execz .LBB5_1395
; %bb.1393:
	s_mov_b32 s11, 0
.LBB5_1394:                             ; =>This Inner Loop Header: Depth=1
	v_mov_b32_e32 v0, s6
	v_mov_b32_e32 v1, s7
	s_sleep 1
	global_store_dwordx2 v[6:7], v[2:3], off
	s_waitcnt_vscnt null, 0x0
	global_atomic_cmpswap_x2 v[0:1], v8, v[0:3], s[26:27] offset:32 glc
	s_waitcnt vmcnt(0)
	v_cmp_eq_u64_e32 vcc_lo, v[0:1], v[2:3]
	v_mov_b32_e32 v3, v1
	v_mov_b32_e32 v2, v0
	s_or_b32 s11, vcc_lo, s11
	s_andn2_b32 exec_lo, exec_lo, s11
	s_cbranch_execnz .LBB5_1394
.LBB5_1395:
	s_or_b32 exec_lo, exec_lo, s10
	v_mov_b32_e32 v3, 0
	s_mov_b32 s11, exec_lo
	s_mov_b32 s10, exec_lo
	v_mbcnt_lo_u32_b32 v2, s11, 0
	global_load_dwordx2 v[0:1], v3, s[26:27] offset:16
	v_cmpx_eq_u32_e32 0, v2
	s_cbranch_execz .LBB5_1397
; %bb.1396:
	s_bcnt1_i32_b32 s11, s11
	v_mov_b32_e32 v2, s11
	s_waitcnt vmcnt(0)
	global_atomic_add_x2 v[0:1], v[2:3], off offset:8
.LBB5_1397:
	s_or_b32 exec_lo, exec_lo, s10
	s_waitcnt vmcnt(0)
	global_load_dwordx2 v[2:3], v[0:1], off offset:16
	s_waitcnt vmcnt(0)
	v_cmp_eq_u64_e32 vcc_lo, 0, v[2:3]
	s_cbranch_vccnz .LBB5_1399
; %bb.1398:
	global_load_dword v0, v[0:1], off offset:24
	v_mov_b32_e32 v1, 0
	s_waitcnt vmcnt(0)
	v_and_b32_e32 v6, 0x7fffff, v0
	s_waitcnt_vscnt null, 0x0
	global_store_dwordx2 v[2:3], v[0:1], off
	v_readfirstlane_b32 m0, v6
	s_sendmsg sendmsg(MSG_INTERRUPT)
.LBB5_1399:
	s_or_b32 exec_lo, exec_lo, s5
	s_branch .LBB5_1403
	.p2align	6
.LBB5_1400:                             ;   in Loop: Header=BB5_1403 Depth=1
	s_or_b32 exec_lo, exec_lo, s5
	v_readfirstlane_b32 s5, v0
	s_cmp_eq_u32 s5, 0
	s_cbranch_scc1 .LBB5_1402
; %bb.1401:                             ;   in Loop: Header=BB5_1403 Depth=1
	s_sleep 1
	s_cbranch_execnz .LBB5_1403
	s_branch .LBB5_1405
	.p2align	6
.LBB5_1402:
	s_branch .LBB5_1405
.LBB5_1403:                             ; =>This Inner Loop Header: Depth=1
	v_mov_b32_e32 v0, 1
	s_and_saveexec_b32 s5, s4
	s_cbranch_execz .LBB5_1400
; %bb.1404:                             ;   in Loop: Header=BB5_1403 Depth=1
	global_load_dword v0, v[10:11], off offset:20 glc dlc
	s_waitcnt vmcnt(0)
	buffer_gl1_inv
	buffer_gl0_inv
	v_and_b32_e32 v0, 1, v0
	s_branch .LBB5_1400
.LBB5_1405:
	global_load_dwordx2 v[0:1], v[12:13], off
	s_and_saveexec_b32 s5, s4
	s_cbranch_execz .LBB5_1409
; %bb.1406:
	v_mov_b32_e32 v10, 0
	s_clause 0x2
	global_load_dwordx2 v[2:3], v10, s[26:27] offset:40
	global_load_dwordx2 v[11:12], v10, s[26:27] offset:24 glc dlc
	global_load_dwordx2 v[8:9], v10, s[26:27]
	s_waitcnt vmcnt(2)
	v_add_co_u32 v13, vcc_lo, v2, 1
	v_add_co_ci_u32_e32 v14, vcc_lo, 0, v3, vcc_lo
	v_add_co_u32 v6, vcc_lo, v13, s6
	v_add_co_ci_u32_e32 v7, vcc_lo, s7, v14, vcc_lo
	v_cmp_eq_u64_e32 vcc_lo, 0, v[6:7]
	v_cndmask_b32_e32 v7, v7, v14, vcc_lo
	v_cndmask_b32_e32 v6, v6, v13, vcc_lo
	v_and_b32_e32 v3, v7, v3
	v_and_b32_e32 v2, v6, v2
	v_mul_lo_u32 v3, v3, 24
	v_mul_hi_u32 v13, v2, 24
	v_mul_lo_u32 v2, v2, 24
	v_add_nc_u32_e32 v3, v13, v3
	s_waitcnt vmcnt(0)
	v_add_co_u32 v2, vcc_lo, v8, v2
	v_mov_b32_e32 v8, v11
	v_add_co_ci_u32_e32 v3, vcc_lo, v9, v3, vcc_lo
	v_mov_b32_e32 v9, v12
	global_store_dwordx2 v[2:3], v[11:12], off
	s_waitcnt_vscnt null, 0x0
	global_atomic_cmpswap_x2 v[8:9], v10, v[6:9], s[26:27] offset:24 glc
	s_waitcnt vmcnt(0)
	v_cmp_ne_u64_e32 vcc_lo, v[8:9], v[11:12]
	s_and_b32 exec_lo, exec_lo, vcc_lo
	s_cbranch_execz .LBB5_1409
; %bb.1407:
	s_mov_b32 s4, 0
.LBB5_1408:                             ; =>This Inner Loop Header: Depth=1
	s_sleep 1
	global_store_dwordx2 v[2:3], v[8:9], off
	s_waitcnt_vscnt null, 0x0
	global_atomic_cmpswap_x2 v[11:12], v10, v[6:9], s[26:27] offset:24 glc
	s_waitcnt vmcnt(0)
	v_cmp_eq_u64_e32 vcc_lo, v[11:12], v[8:9]
	v_mov_b32_e32 v8, v11
	v_mov_b32_e32 v9, v12
	s_or_b32 s4, vcc_lo, s4
	s_andn2_b32 exec_lo, exec_lo, s4
	s_cbranch_execnz .LBB5_1408
.LBB5_1409:
	s_or_b32 exec_lo, exec_lo, s5
.LBB5_1410:
	s_getpc_b64 s[6:7]
	s_add_u32 s6, s6, .str.5@rel32@lo+4
	s_addc_u32 s7, s7, .str.5@rel32@hi+12
	s_cmp_lg_u64 s[6:7], 0
	s_cbranch_scc0 .LBB5_1489
; %bb.1411:
	s_waitcnt vmcnt(0)
	v_and_b32_e32 v10, -3, v0
	v_mov_b32_e32 v11, v1
	v_mov_b32_e32 v7, 0
	;; [unrolled: 1-line block ×4, first 2 shown]
	s_mov_b64 s[10:11], 13
	s_branch .LBB5_1413
.LBB5_1412:                             ;   in Loop: Header=BB5_1413 Depth=1
	s_or_b32 exec_lo, exec_lo, s5
	s_sub_u32 s10, s10, s16
	s_subb_u32 s11, s11, s17
	s_add_u32 s6, s6, s16
	s_addc_u32 s7, s7, s17
	s_cmp_lg_u64 s[10:11], 0
	s_cbranch_scc0 .LBB5_1488
.LBB5_1413:                             ; =>This Loop Header: Depth=1
                                        ;     Child Loop BB5_1422 Depth 2
                                        ;     Child Loop BB5_1418 Depth 2
	;; [unrolled: 1-line block ×11, first 2 shown]
	v_cmp_lt_u64_e64 s4, s[10:11], 56
	v_cmp_gt_u64_e64 s5, s[10:11], 7
                                        ; implicit-def: $sgpr15
	s_and_b32 s4, s4, exec_lo
	s_cselect_b32 s17, s11, 0
	s_cselect_b32 s16, s10, 56
	s_and_b32 vcc_lo, exec_lo, s5
	s_mov_b32 s4, -1
	s_cbranch_vccz .LBB5_1420
; %bb.1414:                             ;   in Loop: Header=BB5_1413 Depth=1
	s_andn2_b32 vcc_lo, exec_lo, s4
	s_mov_b64 s[4:5], s[6:7]
	s_cbranch_vccz .LBB5_1424
.LBB5_1415:                             ;   in Loop: Header=BB5_1413 Depth=1
	s_cmp_gt_u32 s15, 7
	s_cbranch_scc1 .LBB5_1425
.LBB5_1416:                             ;   in Loop: Header=BB5_1413 Depth=1
	v_mov_b32_e32 v14, 0
	v_mov_b32_e32 v15, 0
	s_cmp_eq_u32 s15, 0
	s_cbranch_scc1 .LBB5_1419
; %bb.1417:                             ;   in Loop: Header=BB5_1413 Depth=1
	s_mov_b64 s[18:19], 0
	s_mov_b64 s[20:21], 0
.LBB5_1418:                             ;   Parent Loop BB5_1413 Depth=1
                                        ; =>  This Inner Loop Header: Depth=2
	s_add_u32 s22, s4, s20
	s_addc_u32 s23, s5, s21
	s_add_u32 s20, s20, 1
	global_load_ubyte v2, v7, s[22:23]
	s_addc_u32 s21, s21, 0
	s_waitcnt vmcnt(0)
	v_and_b32_e32 v6, 0xffff, v2
	v_lshlrev_b64 v[2:3], s18, v[6:7]
	s_add_u32 s18, s18, 8
	s_addc_u32 s19, s19, 0
	s_cmp_lg_u32 s15, s20
	v_or_b32_e32 v14, v2, v14
	v_or_b32_e32 v15, v3, v15
	s_cbranch_scc1 .LBB5_1418
.LBB5_1419:                             ;   in Loop: Header=BB5_1413 Depth=1
	s_mov_b32 s22, 0
	s_cbranch_execz .LBB5_1426
	s_branch .LBB5_1427
.LBB5_1420:                             ;   in Loop: Header=BB5_1413 Depth=1
	s_waitcnt vmcnt(0)
	v_mov_b32_e32 v12, 0
	v_mov_b32_e32 v13, 0
	s_cmp_eq_u64 s[10:11], 0
	s_mov_b64 s[4:5], 0
	s_cbranch_scc1 .LBB5_1423
; %bb.1421:                             ;   in Loop: Header=BB5_1413 Depth=1
	v_mov_b32_e32 v12, 0
	v_mov_b32_e32 v13, 0
	s_lshl_b64 s[18:19], s[16:17], 3
	s_mov_b64 s[20:21], s[6:7]
.LBB5_1422:                             ;   Parent Loop BB5_1413 Depth=1
                                        ; =>  This Inner Loop Header: Depth=2
	global_load_ubyte v2, v7, s[20:21]
	s_waitcnt vmcnt(0)
	v_and_b32_e32 v6, 0xffff, v2
	v_lshlrev_b64 v[2:3], s4, v[6:7]
	s_add_u32 s4, s4, 8
	s_addc_u32 s5, s5, 0
	s_add_u32 s20, s20, 1
	s_addc_u32 s21, s21, 0
	s_cmp_lg_u32 s18, s4
	v_or_b32_e32 v12, v2, v12
	v_or_b32_e32 v13, v3, v13
	s_cbranch_scc1 .LBB5_1422
.LBB5_1423:                             ;   in Loop: Header=BB5_1413 Depth=1
	s_mov_b32 s15, 0
	s_mov_b64 s[4:5], s[6:7]
	s_cbranch_execnz .LBB5_1415
.LBB5_1424:                             ;   in Loop: Header=BB5_1413 Depth=1
	global_load_dwordx2 v[12:13], v7, s[6:7]
	s_add_i32 s15, s16, -8
	s_add_u32 s4, s6, 8
	s_addc_u32 s5, s7, 0
	s_cmp_gt_u32 s15, 7
	s_cbranch_scc0 .LBB5_1416
.LBB5_1425:                             ;   in Loop: Header=BB5_1413 Depth=1
                                        ; implicit-def: $vgpr14_vgpr15
                                        ; implicit-def: $sgpr22
.LBB5_1426:                             ;   in Loop: Header=BB5_1413 Depth=1
	global_load_dwordx2 v[14:15], v7, s[4:5]
	s_add_i32 s22, s15, -8
	s_add_u32 s4, s4, 8
	s_addc_u32 s5, s5, 0
.LBB5_1427:                             ;   in Loop: Header=BB5_1413 Depth=1
	s_cmp_gt_u32 s22, 7
	s_cbranch_scc1 .LBB5_1432
; %bb.1428:                             ;   in Loop: Header=BB5_1413 Depth=1
	v_mov_b32_e32 v16, 0
	v_mov_b32_e32 v17, 0
	s_cmp_eq_u32 s22, 0
	s_cbranch_scc1 .LBB5_1431
; %bb.1429:                             ;   in Loop: Header=BB5_1413 Depth=1
	s_mov_b64 s[18:19], 0
	s_mov_b64 s[20:21], 0
.LBB5_1430:                             ;   Parent Loop BB5_1413 Depth=1
                                        ; =>  This Inner Loop Header: Depth=2
	s_add_u32 s24, s4, s20
	s_addc_u32 s25, s5, s21
	s_add_u32 s20, s20, 1
	global_load_ubyte v2, v7, s[24:25]
	s_addc_u32 s21, s21, 0
	s_waitcnt vmcnt(0)
	v_and_b32_e32 v6, 0xffff, v2
	v_lshlrev_b64 v[2:3], s18, v[6:7]
	s_add_u32 s18, s18, 8
	s_addc_u32 s19, s19, 0
	s_cmp_lg_u32 s22, s20
	v_or_b32_e32 v16, v2, v16
	v_or_b32_e32 v17, v3, v17
	s_cbranch_scc1 .LBB5_1430
.LBB5_1431:                             ;   in Loop: Header=BB5_1413 Depth=1
	s_mov_b32 s15, 0
	s_cbranch_execz .LBB5_1433
	s_branch .LBB5_1434
.LBB5_1432:                             ;   in Loop: Header=BB5_1413 Depth=1
                                        ; implicit-def: $sgpr15
.LBB5_1433:                             ;   in Loop: Header=BB5_1413 Depth=1
	global_load_dwordx2 v[16:17], v7, s[4:5]
	s_add_i32 s15, s22, -8
	s_add_u32 s4, s4, 8
	s_addc_u32 s5, s5, 0
.LBB5_1434:                             ;   in Loop: Header=BB5_1413 Depth=1
	s_cmp_gt_u32 s15, 7
	s_cbranch_scc1 .LBB5_1439
; %bb.1435:                             ;   in Loop: Header=BB5_1413 Depth=1
	v_mov_b32_e32 v18, 0
	v_mov_b32_e32 v19, 0
	s_cmp_eq_u32 s15, 0
	s_cbranch_scc1 .LBB5_1438
; %bb.1436:                             ;   in Loop: Header=BB5_1413 Depth=1
	s_mov_b64 s[18:19], 0
	s_mov_b64 s[20:21], 0
.LBB5_1437:                             ;   Parent Loop BB5_1413 Depth=1
                                        ; =>  This Inner Loop Header: Depth=2
	s_add_u32 s22, s4, s20
	s_addc_u32 s23, s5, s21
	s_add_u32 s20, s20, 1
	global_load_ubyte v2, v7, s[22:23]
	s_addc_u32 s21, s21, 0
	s_waitcnt vmcnt(0)
	v_and_b32_e32 v6, 0xffff, v2
	v_lshlrev_b64 v[2:3], s18, v[6:7]
	s_add_u32 s18, s18, 8
	s_addc_u32 s19, s19, 0
	s_cmp_lg_u32 s15, s20
	v_or_b32_e32 v18, v2, v18
	v_or_b32_e32 v19, v3, v19
	s_cbranch_scc1 .LBB5_1437
.LBB5_1438:                             ;   in Loop: Header=BB5_1413 Depth=1
	s_mov_b32 s22, 0
	s_cbranch_execz .LBB5_1440
	s_branch .LBB5_1441
.LBB5_1439:                             ;   in Loop: Header=BB5_1413 Depth=1
                                        ; implicit-def: $vgpr18_vgpr19
                                        ; implicit-def: $sgpr22
.LBB5_1440:                             ;   in Loop: Header=BB5_1413 Depth=1
	global_load_dwordx2 v[18:19], v7, s[4:5]
	s_add_i32 s22, s15, -8
	s_add_u32 s4, s4, 8
	s_addc_u32 s5, s5, 0
.LBB5_1441:                             ;   in Loop: Header=BB5_1413 Depth=1
	s_cmp_gt_u32 s22, 7
	s_cbranch_scc1 .LBB5_1446
; %bb.1442:                             ;   in Loop: Header=BB5_1413 Depth=1
	v_mov_b32_e32 v20, 0
	v_mov_b32_e32 v21, 0
	s_cmp_eq_u32 s22, 0
	s_cbranch_scc1 .LBB5_1445
; %bb.1443:                             ;   in Loop: Header=BB5_1413 Depth=1
	s_mov_b64 s[18:19], 0
	s_mov_b64 s[20:21], 0
.LBB5_1444:                             ;   Parent Loop BB5_1413 Depth=1
                                        ; =>  This Inner Loop Header: Depth=2
	s_add_u32 s24, s4, s20
	s_addc_u32 s25, s5, s21
	s_add_u32 s20, s20, 1
	global_load_ubyte v2, v7, s[24:25]
	s_addc_u32 s21, s21, 0
	s_waitcnt vmcnt(0)
	v_and_b32_e32 v6, 0xffff, v2
	v_lshlrev_b64 v[2:3], s18, v[6:7]
	s_add_u32 s18, s18, 8
	s_addc_u32 s19, s19, 0
	s_cmp_lg_u32 s22, s20
	v_or_b32_e32 v20, v2, v20
	v_or_b32_e32 v21, v3, v21
	s_cbranch_scc1 .LBB5_1444
.LBB5_1445:                             ;   in Loop: Header=BB5_1413 Depth=1
	s_mov_b32 s15, 0
	s_cbranch_execz .LBB5_1447
	s_branch .LBB5_1448
.LBB5_1446:                             ;   in Loop: Header=BB5_1413 Depth=1
                                        ; implicit-def: $sgpr15
.LBB5_1447:                             ;   in Loop: Header=BB5_1413 Depth=1
	global_load_dwordx2 v[20:21], v7, s[4:5]
	s_add_i32 s15, s22, -8
	s_add_u32 s4, s4, 8
	s_addc_u32 s5, s5, 0
.LBB5_1448:                             ;   in Loop: Header=BB5_1413 Depth=1
	s_cmp_gt_u32 s15, 7
	s_cbranch_scc1 .LBB5_1453
; %bb.1449:                             ;   in Loop: Header=BB5_1413 Depth=1
	v_mov_b32_e32 v22, 0
	v_mov_b32_e32 v23, 0
	s_cmp_eq_u32 s15, 0
	s_cbranch_scc1 .LBB5_1452
; %bb.1450:                             ;   in Loop: Header=BB5_1413 Depth=1
	s_mov_b64 s[18:19], 0
	s_mov_b64 s[20:21], 0
.LBB5_1451:                             ;   Parent Loop BB5_1413 Depth=1
                                        ; =>  This Inner Loop Header: Depth=2
	s_add_u32 s22, s4, s20
	s_addc_u32 s23, s5, s21
	s_add_u32 s20, s20, 1
	global_load_ubyte v2, v7, s[22:23]
	s_addc_u32 s21, s21, 0
	s_waitcnt vmcnt(0)
	v_and_b32_e32 v6, 0xffff, v2
	v_lshlrev_b64 v[2:3], s18, v[6:7]
	s_add_u32 s18, s18, 8
	s_addc_u32 s19, s19, 0
	s_cmp_lg_u32 s15, s20
	v_or_b32_e32 v22, v2, v22
	v_or_b32_e32 v23, v3, v23
	s_cbranch_scc1 .LBB5_1451
.LBB5_1452:                             ;   in Loop: Header=BB5_1413 Depth=1
	s_mov_b32 s22, 0
	s_cbranch_execz .LBB5_1454
	s_branch .LBB5_1455
.LBB5_1453:                             ;   in Loop: Header=BB5_1413 Depth=1
                                        ; implicit-def: $vgpr22_vgpr23
                                        ; implicit-def: $sgpr22
.LBB5_1454:                             ;   in Loop: Header=BB5_1413 Depth=1
	global_load_dwordx2 v[22:23], v7, s[4:5]
	s_add_i32 s22, s15, -8
	s_add_u32 s4, s4, 8
	s_addc_u32 s5, s5, 0
.LBB5_1455:                             ;   in Loop: Header=BB5_1413 Depth=1
	s_cmp_gt_u32 s22, 7
	s_cbranch_scc1 .LBB5_1460
; %bb.1456:                             ;   in Loop: Header=BB5_1413 Depth=1
	v_mov_b32_e32 v24, 0
	v_mov_b32_e32 v25, 0
	s_cmp_eq_u32 s22, 0
	s_cbranch_scc1 .LBB5_1459
; %bb.1457:                             ;   in Loop: Header=BB5_1413 Depth=1
	s_mov_b64 s[18:19], 0
	s_mov_b64 s[20:21], s[4:5]
.LBB5_1458:                             ;   Parent Loop BB5_1413 Depth=1
                                        ; =>  This Inner Loop Header: Depth=2
	global_load_ubyte v2, v7, s[20:21]
	s_add_i32 s22, s22, -1
	s_waitcnt vmcnt(0)
	v_and_b32_e32 v6, 0xffff, v2
	v_lshlrev_b64 v[2:3], s18, v[6:7]
	s_add_u32 s18, s18, 8
	s_addc_u32 s19, s19, 0
	s_add_u32 s20, s20, 1
	s_addc_u32 s21, s21, 0
	s_cmp_lg_u32 s22, 0
	v_or_b32_e32 v24, v2, v24
	v_or_b32_e32 v25, v3, v25
	s_cbranch_scc1 .LBB5_1458
.LBB5_1459:                             ;   in Loop: Header=BB5_1413 Depth=1
	s_cbranch_execz .LBB5_1461
	s_branch .LBB5_1462
.LBB5_1460:                             ;   in Loop: Header=BB5_1413 Depth=1
.LBB5_1461:                             ;   in Loop: Header=BB5_1413 Depth=1
	global_load_dwordx2 v[24:25], v7, s[4:5]
.LBB5_1462:                             ;   in Loop: Header=BB5_1413 Depth=1
	v_readfirstlane_b32 s4, v49
	v_mov_b32_e32 v2, 0
	v_mov_b32_e32 v3, 0
	v_cmp_eq_u32_e64 s4, s4, v49
	s_and_saveexec_b32 s5, s4
	s_cbranch_execz .LBB5_1468
; %bb.1463:                             ;   in Loop: Header=BB5_1413 Depth=1
	global_load_dwordx2 v[28:29], v7, s[26:27] offset:24 glc dlc
	s_waitcnt vmcnt(0)
	buffer_gl1_inv
	buffer_gl0_inv
	s_clause 0x1
	global_load_dwordx2 v[2:3], v7, s[26:27] offset:40
	global_load_dwordx2 v[26:27], v7, s[26:27]
	s_mov_b32 s15, exec_lo
	s_waitcnt vmcnt(1)
	v_and_b32_e32 v3, v3, v29
	v_and_b32_e32 v2, v2, v28
	v_mul_lo_u32 v3, v3, 24
	v_mul_hi_u32 v6, v2, 24
	v_mul_lo_u32 v2, v2, 24
	v_add_nc_u32_e32 v3, v6, v3
	s_waitcnt vmcnt(0)
	v_add_co_u32 v2, vcc_lo, v26, v2
	v_add_co_ci_u32_e32 v3, vcc_lo, v27, v3, vcc_lo
	global_load_dwordx2 v[26:27], v[2:3], off glc dlc
	s_waitcnt vmcnt(0)
	global_atomic_cmpswap_x2 v[2:3], v7, v[26:29], s[26:27] offset:24 glc
	s_waitcnt vmcnt(0)
	buffer_gl1_inv
	buffer_gl0_inv
	v_cmpx_ne_u64_e64 v[2:3], v[28:29]
	s_cbranch_execz .LBB5_1467
; %bb.1464:                             ;   in Loop: Header=BB5_1413 Depth=1
	s_mov_b32 s18, 0
	.p2align	6
.LBB5_1465:                             ;   Parent Loop BB5_1413 Depth=1
                                        ; =>  This Inner Loop Header: Depth=2
	s_sleep 1
	s_clause 0x1
	global_load_dwordx2 v[26:27], v7, s[26:27] offset:40
	global_load_dwordx2 v[30:31], v7, s[26:27]
	v_mov_b32_e32 v29, v3
	v_mov_b32_e32 v28, v2
	s_waitcnt vmcnt(1)
	v_and_b32_e32 v2, v26, v28
	v_and_b32_e32 v6, v27, v29
	s_waitcnt vmcnt(0)
	v_mad_u64_u32 v[2:3], null, v2, 24, v[30:31]
	v_mad_u64_u32 v[26:27], null, v6, 24, v[3:4]
	v_mov_b32_e32 v3, v26
	global_load_dwordx2 v[26:27], v[2:3], off glc dlc
	s_waitcnt vmcnt(0)
	global_atomic_cmpswap_x2 v[2:3], v7, v[26:29], s[26:27] offset:24 glc
	s_waitcnt vmcnt(0)
	buffer_gl1_inv
	buffer_gl0_inv
	v_cmp_eq_u64_e32 vcc_lo, v[2:3], v[28:29]
	s_or_b32 s18, vcc_lo, s18
	s_andn2_b32 exec_lo, exec_lo, s18
	s_cbranch_execnz .LBB5_1465
; %bb.1466:                             ;   in Loop: Header=BB5_1413 Depth=1
	s_or_b32 exec_lo, exec_lo, s18
.LBB5_1467:                             ;   in Loop: Header=BB5_1413 Depth=1
	s_or_b32 exec_lo, exec_lo, s15
.LBB5_1468:                             ;   in Loop: Header=BB5_1413 Depth=1
	s_or_b32 exec_lo, exec_lo, s5
	s_clause 0x1
	global_load_dwordx2 v[30:31], v7, s[26:27] offset:40
	global_load_dwordx4 v[26:29], v7, s[26:27]
	v_readfirstlane_b32 s18, v2
	v_readfirstlane_b32 s19, v3
	s_mov_b32 s5, exec_lo
	s_waitcnt vmcnt(1)
	v_readfirstlane_b32 s20, v30
	v_readfirstlane_b32 s21, v31
	s_and_b64 s[20:21], s[18:19], s[20:21]
	s_mul_i32 s15, s21, 24
	s_mul_hi_u32 s22, s20, 24
	s_mul_i32 s23, s20, 24
	s_add_i32 s22, s22, s15
	s_waitcnt vmcnt(0)
	v_add_co_u32 v2, vcc_lo, v26, s23
	v_add_co_ci_u32_e32 v3, vcc_lo, s22, v27, vcc_lo
	s_and_saveexec_b32 s15, s4
	s_cbranch_execz .LBB5_1470
; %bb.1469:                             ;   in Loop: Header=BB5_1413 Depth=1
	v_mov_b32_e32 v6, s5
	global_store_dwordx4 v[2:3], v[6:9], off offset:8
.LBB5_1470:                             ;   in Loop: Header=BB5_1413 Depth=1
	s_or_b32 exec_lo, exec_lo, s15
	s_lshl_b64 s[20:21], s[20:21], 12
	v_or_b32_e32 v6, 2, v10
	v_add_co_u32 v28, vcc_lo, v28, s20
	v_add_co_ci_u32_e32 v29, vcc_lo, s21, v29, vcc_lo
	v_cmp_gt_u64_e64 vcc_lo, s[10:11], 56
	s_lshl_b32 s5, s16, 2
	v_readfirstlane_b32 s20, v28
	s_add_i32 s5, s5, 28
	v_readfirstlane_b32 s21, v29
	s_and_b32 s5, s5, 0x1e0
	v_cndmask_b32_e32 v6, v6, v10, vcc_lo
	v_and_or_b32 v10, 0xffffff1f, v6, s5
	global_store_dwordx4 v48, v[14:17], s[20:21] offset:16
	global_store_dwordx4 v48, v[10:13], s[20:21]
	global_store_dwordx4 v48, v[18:21], s[20:21] offset:32
	global_store_dwordx4 v48, v[22:25], s[20:21] offset:48
	s_and_saveexec_b32 s5, s4
	s_cbranch_execz .LBB5_1478
; %bb.1471:                             ;   in Loop: Header=BB5_1413 Depth=1
	s_clause 0x1
	global_load_dwordx2 v[18:19], v7, s[26:27] offset:32 glc dlc
	global_load_dwordx2 v[10:11], v7, s[26:27] offset:40
	v_mov_b32_e32 v16, s18
	v_mov_b32_e32 v17, s19
	s_waitcnt vmcnt(0)
	v_readfirstlane_b32 s20, v10
	v_readfirstlane_b32 s21, v11
	s_and_b64 s[20:21], s[20:21], s[18:19]
	s_mul_i32 s15, s21, 24
	s_mul_hi_u32 s21, s20, 24
	s_mul_i32 s20, s20, 24
	s_add_i32 s21, s21, s15
	v_add_co_u32 v14, vcc_lo, v26, s20
	v_add_co_ci_u32_e32 v15, vcc_lo, s21, v27, vcc_lo
	s_mov_b32 s15, exec_lo
	global_store_dwordx2 v[14:15], v[18:19], off
	s_waitcnt_vscnt null, 0x0
	global_atomic_cmpswap_x2 v[12:13], v7, v[16:19], s[26:27] offset:32 glc
	s_waitcnt vmcnt(0)
	v_cmpx_ne_u64_e64 v[12:13], v[18:19]
	s_cbranch_execz .LBB5_1474
; %bb.1472:                             ;   in Loop: Header=BB5_1413 Depth=1
	s_mov_b32 s20, 0
.LBB5_1473:                             ;   Parent Loop BB5_1413 Depth=1
                                        ; =>  This Inner Loop Header: Depth=2
	v_mov_b32_e32 v10, s18
	v_mov_b32_e32 v11, s19
	s_sleep 1
	global_store_dwordx2 v[14:15], v[12:13], off
	s_waitcnt_vscnt null, 0x0
	global_atomic_cmpswap_x2 v[10:11], v7, v[10:13], s[26:27] offset:32 glc
	s_waitcnt vmcnt(0)
	v_cmp_eq_u64_e32 vcc_lo, v[10:11], v[12:13]
	v_mov_b32_e32 v13, v11
	v_mov_b32_e32 v12, v10
	s_or_b32 s20, vcc_lo, s20
	s_andn2_b32 exec_lo, exec_lo, s20
	s_cbranch_execnz .LBB5_1473
.LBB5_1474:                             ;   in Loop: Header=BB5_1413 Depth=1
	s_or_b32 exec_lo, exec_lo, s15
	global_load_dwordx2 v[10:11], v7, s[26:27] offset:16
	s_mov_b32 s20, exec_lo
	s_mov_b32 s15, exec_lo
	v_mbcnt_lo_u32_b32 v6, s20, 0
	v_cmpx_eq_u32_e32 0, v6
	s_cbranch_execz .LBB5_1476
; %bb.1475:                             ;   in Loop: Header=BB5_1413 Depth=1
	s_bcnt1_i32_b32 s20, s20
	v_mov_b32_e32 v6, s20
	s_waitcnt vmcnt(0)
	global_atomic_add_x2 v[10:11], v[6:7], off offset:8
.LBB5_1476:                             ;   in Loop: Header=BB5_1413 Depth=1
	s_or_b32 exec_lo, exec_lo, s15
	s_waitcnt vmcnt(0)
	global_load_dwordx2 v[12:13], v[10:11], off offset:16
	s_waitcnt vmcnt(0)
	v_cmp_eq_u64_e32 vcc_lo, 0, v[12:13]
	s_cbranch_vccnz .LBB5_1478
; %bb.1477:                             ;   in Loop: Header=BB5_1413 Depth=1
	global_load_dword v6, v[10:11], off offset:24
	s_waitcnt vmcnt(0)
	v_and_b32_e32 v10, 0x7fffff, v6
	s_waitcnt_vscnt null, 0x0
	global_store_dwordx2 v[12:13], v[6:7], off
	v_readfirstlane_b32 m0, v10
	s_sendmsg sendmsg(MSG_INTERRUPT)
.LBB5_1478:                             ;   in Loop: Header=BB5_1413 Depth=1
	s_or_b32 exec_lo, exec_lo, s5
	v_add_co_u32 v10, vcc_lo, v28, v48
	v_add_co_ci_u32_e32 v11, vcc_lo, 0, v29, vcc_lo
	s_branch .LBB5_1482
	.p2align	6
.LBB5_1479:                             ;   in Loop: Header=BB5_1482 Depth=2
	s_or_b32 exec_lo, exec_lo, s5
	v_readfirstlane_b32 s5, v6
	s_cmp_eq_u32 s5, 0
	s_cbranch_scc1 .LBB5_1481
; %bb.1480:                             ;   in Loop: Header=BB5_1482 Depth=2
	s_sleep 1
	s_cbranch_execnz .LBB5_1482
	s_branch .LBB5_1484
	.p2align	6
.LBB5_1481:                             ;   in Loop: Header=BB5_1413 Depth=1
	s_branch .LBB5_1484
.LBB5_1482:                             ;   Parent Loop BB5_1413 Depth=1
                                        ; =>  This Inner Loop Header: Depth=2
	v_mov_b32_e32 v6, 1
	s_and_saveexec_b32 s5, s4
	s_cbranch_execz .LBB5_1479
; %bb.1483:                             ;   in Loop: Header=BB5_1482 Depth=2
	global_load_dword v6, v[2:3], off offset:20 glc dlc
	s_waitcnt vmcnt(0)
	buffer_gl1_inv
	buffer_gl0_inv
	v_and_b32_e32 v6, 1, v6
	s_branch .LBB5_1479
.LBB5_1484:                             ;   in Loop: Header=BB5_1413 Depth=1
	global_load_dwordx4 v[10:13], v[10:11], off
	s_and_saveexec_b32 s5, s4
	s_cbranch_execz .LBB5_1412
; %bb.1485:                             ;   in Loop: Header=BB5_1413 Depth=1
	s_clause 0x2
	global_load_dwordx2 v[2:3], v7, s[26:27] offset:40
	global_load_dwordx2 v[16:17], v7, s[26:27] offset:24 glc dlc
	global_load_dwordx2 v[14:15], v7, s[26:27]
	s_waitcnt vmcnt(2)
	v_add_co_u32 v6, vcc_lo, v2, 1
	v_add_co_ci_u32_e32 v18, vcc_lo, 0, v3, vcc_lo
	v_add_co_u32 v12, vcc_lo, v6, s18
	v_add_co_ci_u32_e32 v13, vcc_lo, s19, v18, vcc_lo
	v_cmp_eq_u64_e32 vcc_lo, 0, v[12:13]
	v_cndmask_b32_e32 v13, v13, v18, vcc_lo
	v_cndmask_b32_e32 v12, v12, v6, vcc_lo
	v_and_b32_e32 v3, v13, v3
	v_and_b32_e32 v2, v12, v2
	v_mul_lo_u32 v3, v3, 24
	v_mul_hi_u32 v6, v2, 24
	v_mul_lo_u32 v2, v2, 24
	v_add_nc_u32_e32 v3, v6, v3
	s_waitcnt vmcnt(0)
	v_add_co_u32 v2, vcc_lo, v14, v2
	v_mov_b32_e32 v14, v16
	v_add_co_ci_u32_e32 v3, vcc_lo, v15, v3, vcc_lo
	v_mov_b32_e32 v15, v17
	global_store_dwordx2 v[2:3], v[16:17], off
	s_waitcnt_vscnt null, 0x0
	global_atomic_cmpswap_x2 v[14:15], v7, v[12:15], s[26:27] offset:24 glc
	s_waitcnt vmcnt(0)
	v_cmp_ne_u64_e32 vcc_lo, v[14:15], v[16:17]
	s_and_b32 exec_lo, exec_lo, vcc_lo
	s_cbranch_execz .LBB5_1412
; %bb.1486:                             ;   in Loop: Header=BB5_1413 Depth=1
	s_mov_b32 s4, 0
.LBB5_1487:                             ;   Parent Loop BB5_1413 Depth=1
                                        ; =>  This Inner Loop Header: Depth=2
	s_sleep 1
	global_store_dwordx2 v[2:3], v[14:15], off
	s_waitcnt_vscnt null, 0x0
	global_atomic_cmpswap_x2 v[16:17], v7, v[12:15], s[26:27] offset:24 glc
	s_waitcnt vmcnt(0)
	v_cmp_eq_u64_e32 vcc_lo, v[16:17], v[14:15]
	v_mov_b32_e32 v14, v16
	v_mov_b32_e32 v15, v17
	s_or_b32 s4, vcc_lo, s4
	s_andn2_b32 exec_lo, exec_lo, s4
	s_cbranch_execnz .LBB5_1487
	s_branch .LBB5_1412
.LBB5_1488:
	s_mov_b32 s4, 0
	s_branch .LBB5_1490
.LBB5_1489:
	s_mov_b32 s4, -1
.LBB5_1490:
	s_mov_b32 s35, s12
	s_mov_b32 s36, s13
	;; [unrolled: 1-line block ×3, first 2 shown]
	s_and_b32 vcc_lo, exec_lo, s4
	s_cbranch_vccz .LBB5_1518
; %bb.1491:
	v_readfirstlane_b32 s4, v49
	s_waitcnt vmcnt(0)
	v_mov_b32_e32 v10, 0
	v_mov_b32_e32 v11, 0
	v_cmp_eq_u32_e64 s4, s4, v49
	s_and_saveexec_b32 s5, s4
	s_cbranch_execz .LBB5_1497
; %bb.1492:
	v_mov_b32_e32 v2, 0
	s_mov_b32 s6, exec_lo
	global_load_dwordx2 v[8:9], v2, s[26:27] offset:24 glc dlc
	s_waitcnt vmcnt(0)
	buffer_gl1_inv
	buffer_gl0_inv
	s_clause 0x1
	global_load_dwordx2 v[6:7], v2, s[26:27] offset:40
	global_load_dwordx2 v[10:11], v2, s[26:27]
	s_waitcnt vmcnt(1)
	v_and_b32_e32 v3, v7, v9
	v_and_b32_e32 v6, v6, v8
	v_mul_lo_u32 v3, v3, 24
	v_mul_hi_u32 v7, v6, 24
	v_mul_lo_u32 v6, v6, 24
	v_add_nc_u32_e32 v3, v7, v3
	s_waitcnt vmcnt(0)
	v_add_co_u32 v6, vcc_lo, v10, v6
	v_add_co_ci_u32_e32 v7, vcc_lo, v11, v3, vcc_lo
	global_load_dwordx2 v[6:7], v[6:7], off glc dlc
	s_waitcnt vmcnt(0)
	global_atomic_cmpswap_x2 v[10:11], v2, v[6:9], s[26:27] offset:24 glc
	s_waitcnt vmcnt(0)
	buffer_gl1_inv
	buffer_gl0_inv
	v_cmpx_ne_u64_e64 v[10:11], v[8:9]
	s_cbranch_execz .LBB5_1496
; %bb.1493:
	s_mov_b32 s7, 0
	.p2align	6
.LBB5_1494:                             ; =>This Inner Loop Header: Depth=1
	s_sleep 1
	s_clause 0x1
	global_load_dwordx2 v[6:7], v2, s[26:27] offset:40
	global_load_dwordx2 v[12:13], v2, s[26:27]
	v_mov_b32_e32 v8, v10
	v_mov_b32_e32 v9, v11
	s_waitcnt vmcnt(1)
	v_and_b32_e32 v3, v6, v8
	v_and_b32_e32 v6, v7, v9
	s_waitcnt vmcnt(0)
	v_mad_u64_u32 v[10:11], null, v3, 24, v[12:13]
	v_mov_b32_e32 v3, v11
	v_mad_u64_u32 v[6:7], null, v6, 24, v[3:4]
	v_mov_b32_e32 v11, v6
	global_load_dwordx2 v[6:7], v[10:11], off glc dlc
	s_waitcnt vmcnt(0)
	global_atomic_cmpswap_x2 v[10:11], v2, v[6:9], s[26:27] offset:24 glc
	s_waitcnt vmcnt(0)
	buffer_gl1_inv
	buffer_gl0_inv
	v_cmp_eq_u64_e32 vcc_lo, v[10:11], v[8:9]
	s_or_b32 s7, vcc_lo, s7
	s_andn2_b32 exec_lo, exec_lo, s7
	s_cbranch_execnz .LBB5_1494
; %bb.1495:
	s_or_b32 exec_lo, exec_lo, s7
.LBB5_1496:
	s_or_b32 exec_lo, exec_lo, s6
.LBB5_1497:
	s_or_b32 exec_lo, exec_lo, s5
	v_mov_b32_e32 v2, 0
	v_readfirstlane_b32 s6, v10
	v_readfirstlane_b32 s7, v11
	s_mov_b32 s5, exec_lo
	s_clause 0x1
	global_load_dwordx2 v[12:13], v2, s[26:27] offset:40
	global_load_dwordx4 v[6:9], v2, s[26:27]
	s_waitcnt vmcnt(1)
	v_readfirstlane_b32 s10, v12
	v_readfirstlane_b32 s11, v13
	s_and_b64 s[10:11], s[6:7], s[10:11]
	s_mul_i32 s12, s11, 24
	s_mul_hi_u32 s13, s10, 24
	s_mul_i32 s14, s10, 24
	s_add_i32 s13, s13, s12
	s_waitcnt vmcnt(0)
	v_add_co_u32 v10, vcc_lo, v6, s14
	v_add_co_ci_u32_e32 v11, vcc_lo, s13, v7, vcc_lo
	s_and_saveexec_b32 s12, s4
	s_cbranch_execz .LBB5_1499
; %bb.1498:
	v_mov_b32_e32 v12, s5
	v_mov_b32_e32 v13, v2
	v_mov_b32_e32 v14, 2
	v_mov_b32_e32 v15, 1
	global_store_dwordx4 v[10:11], v[12:15], off offset:8
.LBB5_1499:
	s_or_b32 exec_lo, exec_lo, s12
	s_lshl_b64 s[10:11], s[10:11], 12
	s_mov_b32 s12, 0
	v_add_co_u32 v8, vcc_lo, v8, s10
	v_add_co_ci_u32_e32 v9, vcc_lo, s11, v9, vcc_lo
	s_mov_b32 s13, s12
	s_mov_b32 s14, s12
	;; [unrolled: 1-line block ×3, first 2 shown]
	v_and_or_b32 v0, 0xffffff1d, v0, 34
	v_mov_b32_e32 v3, v2
	v_readfirstlane_b32 s10, v8
	v_readfirstlane_b32 s11, v9
	v_mov_b32_e32 v12, s12
	v_mov_b32_e32 v13, s13
	;; [unrolled: 1-line block ×4, first 2 shown]
	global_store_dwordx4 v48, v[0:3], s[10:11]
	global_store_dwordx4 v48, v[12:15], s[10:11] offset:16
	global_store_dwordx4 v48, v[12:15], s[10:11] offset:32
	;; [unrolled: 1-line block ×3, first 2 shown]
	s_and_saveexec_b32 s5, s4
	s_cbranch_execz .LBB5_1507
; %bb.1500:
	v_mov_b32_e32 v8, 0
	v_mov_b32_e32 v12, s6
	;; [unrolled: 1-line block ×3, first 2 shown]
	s_clause 0x1
	global_load_dwordx2 v[14:15], v8, s[26:27] offset:32 glc dlc
	global_load_dwordx2 v[0:1], v8, s[26:27] offset:40
	s_waitcnt vmcnt(0)
	v_readfirstlane_b32 s10, v0
	v_readfirstlane_b32 s11, v1
	s_and_b64 s[10:11], s[10:11], s[6:7]
	s_mul_i32 s11, s11, 24
	s_mul_hi_u32 s12, s10, 24
	s_mul_i32 s10, s10, 24
	s_add_i32 s12, s12, s11
	v_add_co_u32 v6, vcc_lo, v6, s10
	v_add_co_ci_u32_e32 v7, vcc_lo, s12, v7, vcc_lo
	s_mov_b32 s10, exec_lo
	global_store_dwordx2 v[6:7], v[14:15], off
	s_waitcnt_vscnt null, 0x0
	global_atomic_cmpswap_x2 v[2:3], v8, v[12:15], s[26:27] offset:32 glc
	s_waitcnt vmcnt(0)
	v_cmpx_ne_u64_e64 v[2:3], v[14:15]
	s_cbranch_execz .LBB5_1503
; %bb.1501:
	s_mov_b32 s11, 0
.LBB5_1502:                             ; =>This Inner Loop Header: Depth=1
	v_mov_b32_e32 v0, s6
	v_mov_b32_e32 v1, s7
	s_sleep 1
	global_store_dwordx2 v[6:7], v[2:3], off
	s_waitcnt_vscnt null, 0x0
	global_atomic_cmpswap_x2 v[0:1], v8, v[0:3], s[26:27] offset:32 glc
	s_waitcnt vmcnt(0)
	v_cmp_eq_u64_e32 vcc_lo, v[0:1], v[2:3]
	v_mov_b32_e32 v3, v1
	v_mov_b32_e32 v2, v0
	s_or_b32 s11, vcc_lo, s11
	s_andn2_b32 exec_lo, exec_lo, s11
	s_cbranch_execnz .LBB5_1502
.LBB5_1503:
	s_or_b32 exec_lo, exec_lo, s10
	v_mov_b32_e32 v3, 0
	s_mov_b32 s11, exec_lo
	s_mov_b32 s10, exec_lo
	v_mbcnt_lo_u32_b32 v2, s11, 0
	global_load_dwordx2 v[0:1], v3, s[26:27] offset:16
	v_cmpx_eq_u32_e32 0, v2
	s_cbranch_execz .LBB5_1505
; %bb.1504:
	s_bcnt1_i32_b32 s11, s11
	v_mov_b32_e32 v2, s11
	s_waitcnt vmcnt(0)
	global_atomic_add_x2 v[0:1], v[2:3], off offset:8
.LBB5_1505:
	s_or_b32 exec_lo, exec_lo, s10
	s_waitcnt vmcnt(0)
	global_load_dwordx2 v[2:3], v[0:1], off offset:16
	s_waitcnt vmcnt(0)
	v_cmp_eq_u64_e32 vcc_lo, 0, v[2:3]
	s_cbranch_vccnz .LBB5_1507
; %bb.1506:
	global_load_dword v0, v[0:1], off offset:24
	v_mov_b32_e32 v1, 0
	s_waitcnt vmcnt(0)
	v_and_b32_e32 v6, 0x7fffff, v0
	s_waitcnt_vscnt null, 0x0
	global_store_dwordx2 v[2:3], v[0:1], off
	v_readfirstlane_b32 m0, v6
	s_sendmsg sendmsg(MSG_INTERRUPT)
.LBB5_1507:
	s_or_b32 exec_lo, exec_lo, s5
	s_branch .LBB5_1511
	.p2align	6
.LBB5_1508:                             ;   in Loop: Header=BB5_1511 Depth=1
	s_or_b32 exec_lo, exec_lo, s5
	v_readfirstlane_b32 s5, v0
	s_cmp_eq_u32 s5, 0
	s_cbranch_scc1 .LBB5_1510
; %bb.1509:                             ;   in Loop: Header=BB5_1511 Depth=1
	s_sleep 1
	s_cbranch_execnz .LBB5_1511
	s_branch .LBB5_1513
	.p2align	6
.LBB5_1510:
	s_branch .LBB5_1513
.LBB5_1511:                             ; =>This Inner Loop Header: Depth=1
	v_mov_b32_e32 v0, 1
	s_and_saveexec_b32 s5, s4
	s_cbranch_execz .LBB5_1508
; %bb.1512:                             ;   in Loop: Header=BB5_1511 Depth=1
	global_load_dword v0, v[10:11], off offset:20 glc dlc
	s_waitcnt vmcnt(0)
	buffer_gl1_inv
	buffer_gl0_inv
	v_and_b32_e32 v0, 1, v0
	s_branch .LBB5_1508
.LBB5_1513:
	s_and_saveexec_b32 s5, s4
	s_cbranch_execz .LBB5_1517
; %bb.1514:
	v_mov_b32_e32 v8, 0
	s_clause 0x2
	global_load_dwordx2 v[2:3], v8, s[26:27] offset:40
	global_load_dwordx2 v[9:10], v8, s[26:27] offset:24 glc dlc
	global_load_dwordx2 v[6:7], v8, s[26:27]
	s_waitcnt vmcnt(2)
	v_add_co_u32 v11, vcc_lo, v2, 1
	v_add_co_ci_u32_e32 v12, vcc_lo, 0, v3, vcc_lo
	v_add_co_u32 v0, vcc_lo, v11, s6
	v_add_co_ci_u32_e32 v1, vcc_lo, s7, v12, vcc_lo
	v_cmp_eq_u64_e32 vcc_lo, 0, v[0:1]
	v_cndmask_b32_e32 v1, v1, v12, vcc_lo
	v_cndmask_b32_e32 v0, v0, v11, vcc_lo
	v_and_b32_e32 v3, v1, v3
	v_and_b32_e32 v2, v0, v2
	v_mul_lo_u32 v3, v3, 24
	v_mul_hi_u32 v11, v2, 24
	v_mul_lo_u32 v2, v2, 24
	v_add_nc_u32_e32 v3, v11, v3
	s_waitcnt vmcnt(0)
	v_add_co_u32 v6, vcc_lo, v6, v2
	v_mov_b32_e32 v2, v9
	v_add_co_ci_u32_e32 v7, vcc_lo, v7, v3, vcc_lo
	v_mov_b32_e32 v3, v10
	global_store_dwordx2 v[6:7], v[9:10], off
	s_waitcnt_vscnt null, 0x0
	global_atomic_cmpswap_x2 v[2:3], v8, v[0:3], s[26:27] offset:24 glc
	s_waitcnt vmcnt(0)
	v_cmp_ne_u64_e32 vcc_lo, v[2:3], v[9:10]
	s_and_b32 exec_lo, exec_lo, vcc_lo
	s_cbranch_execz .LBB5_1517
; %bb.1515:
	s_mov_b32 s4, 0
.LBB5_1516:                             ; =>This Inner Loop Header: Depth=1
	s_sleep 1
	global_store_dwordx2 v[6:7], v[2:3], off
	s_waitcnt_vscnt null, 0x0
	global_atomic_cmpswap_x2 v[9:10], v8, v[0:3], s[26:27] offset:24 glc
	s_waitcnt vmcnt(0)
	v_cmp_eq_u64_e32 vcc_lo, v[9:10], v[2:3]
	v_mov_b32_e32 v2, v9
	v_mov_b32_e32 v3, v10
	s_or_b32 s4, vcc_lo, s4
	s_andn2_b32 exec_lo, exec_lo, s4
	s_cbranch_execnz .LBB5_1516
.LBB5_1517:
	s_or_b32 exec_lo, exec_lo, s5
.LBB5_1518:
	s_waitcnt vmcnt(0)
	v_mov_b32_e32 v0, v4
	v_mov_b32_e32 v1, v5
	s_getpc_b64 s[38:39]
	s_add_u32 s38, s38, _ZNK8migraphx13basic_printerIZNS_4coutEvEUlT_E_ElsEPKc@rel32@lo+4
	s_addc_u32 s39, s39, _ZNK8migraphx13basic_printerIZNS_4coutEvEUlT_E_ElsEPKc@rel32@hi+12
	s_mov_b64 s[24:25], s[8:9]
	s_swappc_b64 s[30:31], s[38:39]
	s_getpc_b64 s[4:5]
	s_add_u32 s4, s4, .str.6@rel32@lo+4
	s_addc_u32 s5, s5, .str.6@rel32@hi+12
	v_mov_b32_e32 v0, s4
	v_mov_b32_e32 v1, s5
	s_mov_b64 s[8:9], s[24:25]
	s_swappc_b64 s[30:31], s[38:39]
	flat_load_ubyte v0, v[38:39]
	s_mov_b64 s[8:9], s[24:25]
	s_getpc_b64 s[4:5]
	s_add_u32 s4, s4, _ZN8migraphx4testlsIKNS_13basic_printerIZNS_4coutEvEUlT_E_EEEERS3_S7_RKNS0_14lhs_expressionIbNS0_3nopEEE@rel32@lo+4
	s_addc_u32 s5, s5, _ZN8migraphx4testlsIKNS_13basic_printerIZNS_4coutEvEUlT_E_EEEERS3_S7_RKNS0_14lhs_expressionIbNS0_3nopEEE@rel32@hi+12
	s_swappc_b64 s[30:31], s[4:5]
	s_getpc_b64 s[4:5]
	s_add_u32 s4, s4, .str.7@rel32@lo+4
	s_addc_u32 s5, s5, .str.7@rel32@hi+12
	v_mov_b32_e32 v0, s4
	v_mov_b32_e32 v1, s5
	s_mov_b64 s[8:9], s[24:25]
	s_mov_b64 s[22:23], s[24:25]
	s_swappc_b64 s[30:31], s[38:39]
	v_readfirstlane_b32 s4, v49
	v_mov_b32_e32 v6, 0
	v_mov_b32_e32 v7, 0
	v_cmp_eq_u32_e64 s4, s4, v49
	s_and_saveexec_b32 s5, s4
	s_mov_b32 s14, s37
	s_mov_b32 s13, s36
	s_mov_b32 s12, s35
	s_cbranch_execz .LBB5_1524
; %bb.1519:
	v_mov_b32_e32 v0, 0
	s_mov_b32 s6, exec_lo
	global_load_dwordx2 v[3:4], v0, s[26:27] offset:24 glc dlc
	s_waitcnt vmcnt(0)
	buffer_gl1_inv
	buffer_gl0_inv
	s_clause 0x1
	global_load_dwordx2 v[1:2], v0, s[26:27] offset:40
	global_load_dwordx2 v[5:6], v0, s[26:27]
	s_waitcnt vmcnt(1)
	v_and_b32_e32 v2, v2, v4
	v_and_b32_e32 v1, v1, v3
	v_mul_lo_u32 v2, v2, 24
	v_mul_hi_u32 v7, v1, 24
	v_mul_lo_u32 v1, v1, 24
	v_add_nc_u32_e32 v2, v7, v2
	s_waitcnt vmcnt(0)
	v_add_co_u32 v1, vcc_lo, v5, v1
	v_add_co_ci_u32_e32 v2, vcc_lo, v6, v2, vcc_lo
	global_load_dwordx2 v[1:2], v[1:2], off glc dlc
	s_waitcnt vmcnt(0)
	global_atomic_cmpswap_x2 v[6:7], v0, v[1:4], s[26:27] offset:24 glc
	s_waitcnt vmcnt(0)
	buffer_gl1_inv
	buffer_gl0_inv
	v_cmpx_ne_u64_e64 v[6:7], v[3:4]
	s_cbranch_execz .LBB5_1523
; %bb.1520:
	s_mov_b32 s7, 0
	.p2align	6
.LBB5_1521:                             ; =>This Inner Loop Header: Depth=1
	s_sleep 1
	s_clause 0x1
	global_load_dwordx2 v[1:2], v0, s[26:27] offset:40
	global_load_dwordx2 v[8:9], v0, s[26:27]
	v_mov_b32_e32 v3, v6
	v_mov_b32_e32 v4, v7
	s_waitcnt vmcnt(1)
	v_and_b32_e32 v1, v1, v3
	v_and_b32_e32 v2, v2, v4
	s_waitcnt vmcnt(0)
	v_mad_u64_u32 v[5:6], null, v1, 24, v[8:9]
	v_mov_b32_e32 v1, v6
	v_mad_u64_u32 v[1:2], null, v2, 24, v[1:2]
	v_mov_b32_e32 v6, v1
	global_load_dwordx2 v[1:2], v[5:6], off glc dlc
	s_waitcnt vmcnt(0)
	global_atomic_cmpswap_x2 v[6:7], v0, v[1:4], s[26:27] offset:24 glc
	s_waitcnt vmcnt(0)
	buffer_gl1_inv
	buffer_gl0_inv
	v_cmp_eq_u64_e32 vcc_lo, v[6:7], v[3:4]
	s_or_b32 s7, vcc_lo, s7
	s_andn2_b32 exec_lo, exec_lo, s7
	s_cbranch_execnz .LBB5_1521
; %bb.1522:
	s_or_b32 exec_lo, exec_lo, s7
.LBB5_1523:
	s_or_b32 exec_lo, exec_lo, s6
.LBB5_1524:
	s_or_b32 exec_lo, exec_lo, s5
	v_mov_b32_e32 v5, 0
	v_readfirstlane_b32 s6, v6
	v_readfirstlane_b32 s7, v7
	s_mov_b32 s5, exec_lo
	s_clause 0x1
	global_load_dwordx2 v[8:9], v5, s[26:27] offset:40
	global_load_dwordx4 v[0:3], v5, s[26:27]
	s_waitcnt vmcnt(1)
	v_readfirstlane_b32 s8, v8
	v_readfirstlane_b32 s9, v9
	s_and_b64 s[8:9], s[6:7], s[8:9]
	s_mul_i32 s10, s9, 24
	s_mul_hi_u32 s11, s8, 24
	s_mul_i32 s15, s8, 24
	s_add_i32 s11, s11, s10
	s_waitcnt vmcnt(0)
	v_add_co_u32 v8, vcc_lo, v0, s15
	v_add_co_ci_u32_e32 v9, vcc_lo, s11, v1, vcc_lo
	s_and_saveexec_b32 s10, s4
	s_cbranch_execz .LBB5_1526
; %bb.1525:
	v_mov_b32_e32 v4, s5
	v_mov_b32_e32 v6, 2
	;; [unrolled: 1-line block ×3, first 2 shown]
	global_store_dwordx4 v[8:9], v[4:7], off offset:8
.LBB5_1526:
	s_or_b32 exec_lo, exec_lo, s10
	s_lshl_b64 s[8:9], s[8:9], 12
	v_mov_b32_e32 v4, 33
	v_add_co_u32 v2, vcc_lo, v2, s8
	v_add_co_ci_u32_e32 v3, vcc_lo, s9, v3, vcc_lo
	s_mov_b32 s8, 0
	v_add_co_u32 v10, vcc_lo, v2, v48
	s_mov_b32 s11, s8
	s_mov_b32 s9, s8
	;; [unrolled: 1-line block ×3, first 2 shown]
	v_mov_b32_e32 v6, v5
	v_mov_b32_e32 v7, v5
	v_readfirstlane_b32 s16, v2
	v_readfirstlane_b32 s17, v3
	v_mov_b32_e32 v15, s11
	v_add_co_ci_u32_e32 v11, vcc_lo, 0, v3, vcc_lo
	v_mov_b32_e32 v14, s10
	v_mov_b32_e32 v13, s9
	;; [unrolled: 1-line block ×3, first 2 shown]
	global_store_dwordx4 v48, v[4:7], s[16:17]
	global_store_dwordx4 v48, v[12:15], s[16:17] offset:16
	global_store_dwordx4 v48, v[12:15], s[16:17] offset:32
	;; [unrolled: 1-line block ×3, first 2 shown]
	s_and_saveexec_b32 s5, s4
	s_mov_b64 s[8:9], s[22:23]
	s_cbranch_execz .LBB5_1534
; %bb.1527:
	v_mov_b32_e32 v6, 0
	v_mov_b32_e32 v12, s6
	;; [unrolled: 1-line block ×3, first 2 shown]
	s_clause 0x1
	global_load_dwordx2 v[14:15], v6, s[26:27] offset:32 glc dlc
	global_load_dwordx2 v[2:3], v6, s[26:27] offset:40
	s_waitcnt vmcnt(0)
	v_readfirstlane_b32 s10, v2
	v_readfirstlane_b32 s11, v3
	s_and_b64 s[10:11], s[10:11], s[6:7]
	s_mul_i32 s11, s11, 24
	s_mul_hi_u32 s15, s10, 24
	s_mul_i32 s10, s10, 24
	s_add_i32 s15, s15, s11
	v_add_co_u32 v4, vcc_lo, v0, s10
	v_add_co_ci_u32_e32 v5, vcc_lo, s15, v1, vcc_lo
	s_mov_b32 s10, exec_lo
	global_store_dwordx2 v[4:5], v[14:15], off
	s_waitcnt_vscnt null, 0x0
	global_atomic_cmpswap_x2 v[2:3], v6, v[12:15], s[26:27] offset:32 glc
	s_waitcnt vmcnt(0)
	v_cmpx_ne_u64_e64 v[2:3], v[14:15]
	s_cbranch_execz .LBB5_1530
; %bb.1528:
	s_mov_b32 s11, 0
.LBB5_1529:                             ; =>This Inner Loop Header: Depth=1
	v_mov_b32_e32 v0, s6
	v_mov_b32_e32 v1, s7
	s_sleep 1
	global_store_dwordx2 v[4:5], v[2:3], off
	s_waitcnt_vscnt null, 0x0
	global_atomic_cmpswap_x2 v[0:1], v6, v[0:3], s[26:27] offset:32 glc
	s_waitcnt vmcnt(0)
	v_cmp_eq_u64_e32 vcc_lo, v[0:1], v[2:3]
	v_mov_b32_e32 v3, v1
	v_mov_b32_e32 v2, v0
	s_or_b32 s11, vcc_lo, s11
	s_andn2_b32 exec_lo, exec_lo, s11
	s_cbranch_execnz .LBB5_1529
.LBB5_1530:
	s_or_b32 exec_lo, exec_lo, s10
	v_mov_b32_e32 v3, 0
	s_mov_b32 s11, exec_lo
	s_mov_b32 s10, exec_lo
	v_mbcnt_lo_u32_b32 v2, s11, 0
	global_load_dwordx2 v[0:1], v3, s[26:27] offset:16
	v_cmpx_eq_u32_e32 0, v2
	s_cbranch_execz .LBB5_1532
; %bb.1531:
	s_bcnt1_i32_b32 s11, s11
	v_mov_b32_e32 v2, s11
	s_waitcnt vmcnt(0)
	global_atomic_add_x2 v[0:1], v[2:3], off offset:8
.LBB5_1532:
	s_or_b32 exec_lo, exec_lo, s10
	s_waitcnt vmcnt(0)
	global_load_dwordx2 v[2:3], v[0:1], off offset:16
	s_waitcnt vmcnt(0)
	v_cmp_eq_u64_e32 vcc_lo, 0, v[2:3]
	s_cbranch_vccnz .LBB5_1534
; %bb.1533:
	global_load_dword v0, v[0:1], off offset:24
	v_mov_b32_e32 v1, 0
	s_waitcnt vmcnt(0)
	v_and_b32_e32 v4, 0x7fffff, v0
	s_waitcnt_vscnt null, 0x0
	global_store_dwordx2 v[2:3], v[0:1], off
	v_readfirstlane_b32 m0, v4
	s_sendmsg sendmsg(MSG_INTERRUPT)
.LBB5_1534:
	s_or_b32 exec_lo, exec_lo, s5
	s_branch .LBB5_1538
	.p2align	6
.LBB5_1535:                             ;   in Loop: Header=BB5_1538 Depth=1
	s_or_b32 exec_lo, exec_lo, s5
	v_readfirstlane_b32 s5, v0
	s_cmp_eq_u32 s5, 0
	s_cbranch_scc1 .LBB5_1537
; %bb.1536:                             ;   in Loop: Header=BB5_1538 Depth=1
	s_sleep 1
	s_cbranch_execnz .LBB5_1538
	s_branch .LBB5_1540
	.p2align	6
.LBB5_1537:
	s_branch .LBB5_1540
.LBB5_1538:                             ; =>This Inner Loop Header: Depth=1
	v_mov_b32_e32 v0, 1
	s_and_saveexec_b32 s5, s4
	s_cbranch_execz .LBB5_1535
; %bb.1539:                             ;   in Loop: Header=BB5_1538 Depth=1
	global_load_dword v0, v[8:9], off offset:20 glc dlc
	s_waitcnt vmcnt(0)
	buffer_gl1_inv
	buffer_gl0_inv
	v_and_b32_e32 v0, 1, v0
	s_branch .LBB5_1535
.LBB5_1540:
	global_load_dwordx2 v[0:1], v[10:11], off
	s_and_saveexec_b32 s5, s4
	s_cbranch_execz .LBB5_1544
; %bb.1541:
	v_mov_b32_e32 v8, 0
	s_clause 0x2
	global_load_dwordx2 v[4:5], v8, s[26:27] offset:40
	global_load_dwordx2 v[9:10], v8, s[26:27] offset:24 glc dlc
	global_load_dwordx2 v[6:7], v8, s[26:27]
	s_waitcnt vmcnt(2)
	v_add_co_u32 v11, vcc_lo, v4, 1
	v_add_co_ci_u32_e32 v12, vcc_lo, 0, v5, vcc_lo
	v_add_co_u32 v2, vcc_lo, v11, s6
	v_add_co_ci_u32_e32 v3, vcc_lo, s7, v12, vcc_lo
	v_cmp_eq_u64_e32 vcc_lo, 0, v[2:3]
	v_cndmask_b32_e32 v3, v3, v12, vcc_lo
	v_cndmask_b32_e32 v2, v2, v11, vcc_lo
	v_and_b32_e32 v5, v3, v5
	v_and_b32_e32 v4, v2, v4
	v_mul_lo_u32 v5, v5, 24
	v_mul_hi_u32 v11, v4, 24
	v_mul_lo_u32 v4, v4, 24
	v_add_nc_u32_e32 v5, v11, v5
	s_waitcnt vmcnt(0)
	v_add_co_u32 v6, vcc_lo, v6, v4
	v_mov_b32_e32 v4, v9
	v_add_co_ci_u32_e32 v7, vcc_lo, v7, v5, vcc_lo
	v_mov_b32_e32 v5, v10
	global_store_dwordx2 v[6:7], v[9:10], off
	s_waitcnt_vscnt null, 0x0
	global_atomic_cmpswap_x2 v[4:5], v8, v[2:5], s[26:27] offset:24 glc
	s_waitcnt vmcnt(0)
	v_cmp_ne_u64_e32 vcc_lo, v[4:5], v[9:10]
	s_and_b32 exec_lo, exec_lo, vcc_lo
	s_cbranch_execz .LBB5_1544
; %bb.1542:
	s_mov_b32 s4, 0
.LBB5_1543:                             ; =>This Inner Loop Header: Depth=1
	s_sleep 1
	global_store_dwordx2 v[6:7], v[4:5], off
	s_waitcnt_vscnt null, 0x0
	global_atomic_cmpswap_x2 v[9:10], v8, v[2:5], s[26:27] offset:24 glc
	s_waitcnt vmcnt(0)
	v_cmp_eq_u64_e32 vcc_lo, v[9:10], v[4:5]
	v_mov_b32_e32 v4, v9
	v_mov_b32_e32 v5, v10
	s_or_b32 s4, vcc_lo, s4
	s_andn2_b32 exec_lo, exec_lo, s4
	s_cbranch_execnz .LBB5_1543
.LBB5_1544:
	s_or_b32 exec_lo, exec_lo, s5
	s_and_b32 vcc_lo, exec_lo, s34
	s_cbranch_vccz .LBB5_1623
; %bb.1545:
	s_waitcnt vmcnt(0)
	v_and_b32_e32 v31, 2, v0
	v_mov_b32_e32 v6, 0
	v_and_b32_e32 v2, -3, v0
	v_mov_b32_e32 v3, v1
	v_mov_b32_e32 v7, 2
	;; [unrolled: 1-line block ×3, first 2 shown]
	s_mov_b64 s[10:11], 3
	s_getpc_b64 s[6:7]
	s_add_u32 s6, s6, .str.9@rel32@lo+4
	s_addc_u32 s7, s7, .str.9@rel32@hi+12
	s_branch .LBB5_1547
.LBB5_1546:                             ;   in Loop: Header=BB5_1547 Depth=1
	s_or_b32 exec_lo, exec_lo, s5
	s_sub_u32 s10, s10, s16
	s_subb_u32 s11, s11, s17
	s_add_u32 s6, s6, s16
	s_addc_u32 s7, s7, s17
	s_cmp_lg_u64 s[10:11], 0
	s_cbranch_scc0 .LBB5_1622
.LBB5_1547:                             ; =>This Loop Header: Depth=1
                                        ;     Child Loop BB5_1556 Depth 2
                                        ;     Child Loop BB5_1552 Depth 2
                                        ;     Child Loop BB5_1564 Depth 2
                                        ;     Child Loop BB5_1571 Depth 2
                                        ;     Child Loop BB5_1578 Depth 2
                                        ;     Child Loop BB5_1585 Depth 2
                                        ;     Child Loop BB5_1592 Depth 2
                                        ;     Child Loop BB5_1599 Depth 2
                                        ;     Child Loop BB5_1607 Depth 2
                                        ;     Child Loop BB5_1616 Depth 2
                                        ;     Child Loop BB5_1621 Depth 2
	v_cmp_lt_u64_e64 s4, s[10:11], 56
	v_cmp_gt_u64_e64 s5, s[10:11], 7
                                        ; implicit-def: $vgpr11_vgpr12
                                        ; implicit-def: $sgpr15
	s_and_b32 s4, s4, exec_lo
	s_cselect_b32 s17, s11, 0
	s_cselect_b32 s16, s10, 56
	s_and_b32 vcc_lo, exec_lo, s5
	s_mov_b32 s4, -1
	s_cbranch_vccz .LBB5_1554
; %bb.1548:                             ;   in Loop: Header=BB5_1547 Depth=1
	s_andn2_b32 vcc_lo, exec_lo, s4
	s_mov_b64 s[4:5], s[6:7]
	s_cbranch_vccz .LBB5_1558
.LBB5_1549:                             ;   in Loop: Header=BB5_1547 Depth=1
	s_cmp_gt_u32 s15, 7
	s_cbranch_scc1 .LBB5_1559
.LBB5_1550:                             ;   in Loop: Header=BB5_1547 Depth=1
	v_mov_b32_e32 v13, 0
	v_mov_b32_e32 v14, 0
	s_cmp_eq_u32 s15, 0
	s_cbranch_scc1 .LBB5_1553
; %bb.1551:                             ;   in Loop: Header=BB5_1547 Depth=1
	s_mov_b64 s[18:19], 0
	s_mov_b64 s[20:21], 0
.LBB5_1552:                             ;   Parent Loop BB5_1547 Depth=1
                                        ; =>  This Inner Loop Header: Depth=2
	s_add_u32 s22, s4, s20
	s_addc_u32 s23, s5, s21
	s_add_u32 s20, s20, 1
	global_load_ubyte v4, v6, s[22:23]
	s_addc_u32 s21, s21, 0
	s_waitcnt vmcnt(0)
	v_and_b32_e32 v5, 0xffff, v4
	v_lshlrev_b64 v[4:5], s18, v[5:6]
	s_add_u32 s18, s18, 8
	s_addc_u32 s19, s19, 0
	s_cmp_lg_u32 s15, s20
	v_or_b32_e32 v13, v4, v13
	v_or_b32_e32 v14, v5, v14
	s_cbranch_scc1 .LBB5_1552
.LBB5_1553:                             ;   in Loop: Header=BB5_1547 Depth=1
	s_mov_b32 s22, 0
	s_cbranch_execz .LBB5_1560
	s_branch .LBB5_1561
.LBB5_1554:                             ;   in Loop: Header=BB5_1547 Depth=1
	v_mov_b32_e32 v11, 0
	v_mov_b32_e32 v12, 0
	s_cmp_eq_u64 s[10:11], 0
	s_mov_b64 s[4:5], 0
	s_cbranch_scc1 .LBB5_1557
; %bb.1555:                             ;   in Loop: Header=BB5_1547 Depth=1
	v_mov_b32_e32 v11, 0
	v_mov_b32_e32 v12, 0
	s_lshl_b64 s[18:19], s[16:17], 3
	s_mov_b64 s[20:21], s[6:7]
.LBB5_1556:                             ;   Parent Loop BB5_1547 Depth=1
                                        ; =>  This Inner Loop Header: Depth=2
	global_load_ubyte v4, v6, s[20:21]
	s_waitcnt vmcnt(0)
	v_and_b32_e32 v5, 0xffff, v4
	v_lshlrev_b64 v[4:5], s4, v[5:6]
	s_add_u32 s4, s4, 8
	s_addc_u32 s5, s5, 0
	s_add_u32 s20, s20, 1
	s_addc_u32 s21, s21, 0
	s_cmp_lg_u32 s18, s4
	v_or_b32_e32 v11, v4, v11
	v_or_b32_e32 v12, v5, v12
	s_cbranch_scc1 .LBB5_1556
.LBB5_1557:                             ;   in Loop: Header=BB5_1547 Depth=1
	s_mov_b32 s15, 0
	s_mov_b64 s[4:5], s[6:7]
	s_cbranch_execnz .LBB5_1549
.LBB5_1558:                             ;   in Loop: Header=BB5_1547 Depth=1
	global_load_dwordx2 v[11:12], v6, s[6:7]
	s_add_i32 s15, s16, -8
	s_add_u32 s4, s6, 8
	s_addc_u32 s5, s7, 0
	s_cmp_gt_u32 s15, 7
	s_cbranch_scc0 .LBB5_1550
.LBB5_1559:                             ;   in Loop: Header=BB5_1547 Depth=1
                                        ; implicit-def: $vgpr13_vgpr14
                                        ; implicit-def: $sgpr22
.LBB5_1560:                             ;   in Loop: Header=BB5_1547 Depth=1
	global_load_dwordx2 v[13:14], v6, s[4:5]
	s_add_i32 s22, s15, -8
	s_add_u32 s4, s4, 8
	s_addc_u32 s5, s5, 0
.LBB5_1561:                             ;   in Loop: Header=BB5_1547 Depth=1
	s_cmp_gt_u32 s22, 7
	s_cbranch_scc1 .LBB5_1566
; %bb.1562:                             ;   in Loop: Header=BB5_1547 Depth=1
	v_mov_b32_e32 v15, 0
	v_mov_b32_e32 v16, 0
	s_cmp_eq_u32 s22, 0
	s_cbranch_scc1 .LBB5_1565
; %bb.1563:                             ;   in Loop: Header=BB5_1547 Depth=1
	s_mov_b64 s[18:19], 0
	s_mov_b64 s[20:21], 0
.LBB5_1564:                             ;   Parent Loop BB5_1547 Depth=1
                                        ; =>  This Inner Loop Header: Depth=2
	s_add_u32 s24, s4, s20
	s_addc_u32 s25, s5, s21
	s_add_u32 s20, s20, 1
	global_load_ubyte v4, v6, s[24:25]
	s_addc_u32 s21, s21, 0
	s_waitcnt vmcnt(0)
	v_and_b32_e32 v5, 0xffff, v4
	v_lshlrev_b64 v[4:5], s18, v[5:6]
	s_add_u32 s18, s18, 8
	s_addc_u32 s19, s19, 0
	s_cmp_lg_u32 s22, s20
	v_or_b32_e32 v15, v4, v15
	v_or_b32_e32 v16, v5, v16
	s_cbranch_scc1 .LBB5_1564
.LBB5_1565:                             ;   in Loop: Header=BB5_1547 Depth=1
	s_mov_b32 s15, 0
	s_cbranch_execz .LBB5_1567
	s_branch .LBB5_1568
.LBB5_1566:                             ;   in Loop: Header=BB5_1547 Depth=1
                                        ; implicit-def: $sgpr15
.LBB5_1567:                             ;   in Loop: Header=BB5_1547 Depth=1
	global_load_dwordx2 v[15:16], v6, s[4:5]
	s_add_i32 s15, s22, -8
	s_add_u32 s4, s4, 8
	s_addc_u32 s5, s5, 0
.LBB5_1568:                             ;   in Loop: Header=BB5_1547 Depth=1
	s_cmp_gt_u32 s15, 7
	s_cbranch_scc1 .LBB5_1573
; %bb.1569:                             ;   in Loop: Header=BB5_1547 Depth=1
	v_mov_b32_e32 v17, 0
	v_mov_b32_e32 v18, 0
	s_cmp_eq_u32 s15, 0
	s_cbranch_scc1 .LBB5_1572
; %bb.1570:                             ;   in Loop: Header=BB5_1547 Depth=1
	s_mov_b64 s[18:19], 0
	s_mov_b64 s[20:21], 0
.LBB5_1571:                             ;   Parent Loop BB5_1547 Depth=1
                                        ; =>  This Inner Loop Header: Depth=2
	s_add_u32 s22, s4, s20
	s_addc_u32 s23, s5, s21
	s_add_u32 s20, s20, 1
	global_load_ubyte v4, v6, s[22:23]
	s_addc_u32 s21, s21, 0
	s_waitcnt vmcnt(0)
	v_and_b32_e32 v5, 0xffff, v4
	v_lshlrev_b64 v[4:5], s18, v[5:6]
	s_add_u32 s18, s18, 8
	s_addc_u32 s19, s19, 0
	s_cmp_lg_u32 s15, s20
	v_or_b32_e32 v17, v4, v17
	v_or_b32_e32 v18, v5, v18
	s_cbranch_scc1 .LBB5_1571
.LBB5_1572:                             ;   in Loop: Header=BB5_1547 Depth=1
	s_mov_b32 s22, 0
	s_cbranch_execz .LBB5_1574
	s_branch .LBB5_1575
.LBB5_1573:                             ;   in Loop: Header=BB5_1547 Depth=1
                                        ; implicit-def: $vgpr17_vgpr18
                                        ; implicit-def: $sgpr22
.LBB5_1574:                             ;   in Loop: Header=BB5_1547 Depth=1
	global_load_dwordx2 v[17:18], v6, s[4:5]
	s_add_i32 s22, s15, -8
	s_add_u32 s4, s4, 8
	s_addc_u32 s5, s5, 0
.LBB5_1575:                             ;   in Loop: Header=BB5_1547 Depth=1
	s_cmp_gt_u32 s22, 7
	s_cbranch_scc1 .LBB5_1580
; %bb.1576:                             ;   in Loop: Header=BB5_1547 Depth=1
	v_mov_b32_e32 v19, 0
	v_mov_b32_e32 v20, 0
	s_cmp_eq_u32 s22, 0
	s_cbranch_scc1 .LBB5_1579
; %bb.1577:                             ;   in Loop: Header=BB5_1547 Depth=1
	s_mov_b64 s[18:19], 0
	s_mov_b64 s[20:21], 0
.LBB5_1578:                             ;   Parent Loop BB5_1547 Depth=1
                                        ; =>  This Inner Loop Header: Depth=2
	s_add_u32 s24, s4, s20
	s_addc_u32 s25, s5, s21
	s_add_u32 s20, s20, 1
	global_load_ubyte v4, v6, s[24:25]
	s_addc_u32 s21, s21, 0
	s_waitcnt vmcnt(0)
	v_and_b32_e32 v5, 0xffff, v4
	v_lshlrev_b64 v[4:5], s18, v[5:6]
	s_add_u32 s18, s18, 8
	s_addc_u32 s19, s19, 0
	s_cmp_lg_u32 s22, s20
	v_or_b32_e32 v19, v4, v19
	v_or_b32_e32 v20, v5, v20
	s_cbranch_scc1 .LBB5_1578
.LBB5_1579:                             ;   in Loop: Header=BB5_1547 Depth=1
	s_mov_b32 s15, 0
	s_cbranch_execz .LBB5_1581
	s_branch .LBB5_1582
.LBB5_1580:                             ;   in Loop: Header=BB5_1547 Depth=1
                                        ; implicit-def: $sgpr15
.LBB5_1581:                             ;   in Loop: Header=BB5_1547 Depth=1
	global_load_dwordx2 v[19:20], v6, s[4:5]
	s_add_i32 s15, s22, -8
	s_add_u32 s4, s4, 8
	s_addc_u32 s5, s5, 0
.LBB5_1582:                             ;   in Loop: Header=BB5_1547 Depth=1
	s_cmp_gt_u32 s15, 7
	s_cbranch_scc1 .LBB5_1587
; %bb.1583:                             ;   in Loop: Header=BB5_1547 Depth=1
	v_mov_b32_e32 v21, 0
	v_mov_b32_e32 v22, 0
	s_cmp_eq_u32 s15, 0
	s_cbranch_scc1 .LBB5_1586
; %bb.1584:                             ;   in Loop: Header=BB5_1547 Depth=1
	s_mov_b64 s[18:19], 0
	s_mov_b64 s[20:21], 0
.LBB5_1585:                             ;   Parent Loop BB5_1547 Depth=1
                                        ; =>  This Inner Loop Header: Depth=2
	s_add_u32 s22, s4, s20
	s_addc_u32 s23, s5, s21
	s_add_u32 s20, s20, 1
	global_load_ubyte v4, v6, s[22:23]
	s_addc_u32 s21, s21, 0
	s_waitcnt vmcnt(0)
	v_and_b32_e32 v5, 0xffff, v4
	v_lshlrev_b64 v[4:5], s18, v[5:6]
	s_add_u32 s18, s18, 8
	s_addc_u32 s19, s19, 0
	s_cmp_lg_u32 s15, s20
	v_or_b32_e32 v21, v4, v21
	v_or_b32_e32 v22, v5, v22
	s_cbranch_scc1 .LBB5_1585
.LBB5_1586:                             ;   in Loop: Header=BB5_1547 Depth=1
	s_mov_b32 s22, 0
	s_cbranch_execz .LBB5_1588
	s_branch .LBB5_1589
.LBB5_1587:                             ;   in Loop: Header=BB5_1547 Depth=1
                                        ; implicit-def: $vgpr21_vgpr22
                                        ; implicit-def: $sgpr22
.LBB5_1588:                             ;   in Loop: Header=BB5_1547 Depth=1
	global_load_dwordx2 v[21:22], v6, s[4:5]
	s_add_i32 s22, s15, -8
	s_add_u32 s4, s4, 8
	s_addc_u32 s5, s5, 0
.LBB5_1589:                             ;   in Loop: Header=BB5_1547 Depth=1
	s_cmp_gt_u32 s22, 7
	s_cbranch_scc1 .LBB5_1594
; %bb.1590:                             ;   in Loop: Header=BB5_1547 Depth=1
	v_mov_b32_e32 v23, 0
	v_mov_b32_e32 v24, 0
	s_cmp_eq_u32 s22, 0
	s_cbranch_scc1 .LBB5_1593
; %bb.1591:                             ;   in Loop: Header=BB5_1547 Depth=1
	s_mov_b64 s[18:19], 0
	s_mov_b64 s[20:21], s[4:5]
.LBB5_1592:                             ;   Parent Loop BB5_1547 Depth=1
                                        ; =>  This Inner Loop Header: Depth=2
	global_load_ubyte v4, v6, s[20:21]
	s_add_i32 s22, s22, -1
	s_waitcnt vmcnt(0)
	v_and_b32_e32 v5, 0xffff, v4
	v_lshlrev_b64 v[4:5], s18, v[5:6]
	s_add_u32 s18, s18, 8
	s_addc_u32 s19, s19, 0
	s_add_u32 s20, s20, 1
	s_addc_u32 s21, s21, 0
	s_cmp_lg_u32 s22, 0
	v_or_b32_e32 v23, v4, v23
	v_or_b32_e32 v24, v5, v24
	s_cbranch_scc1 .LBB5_1592
.LBB5_1593:                             ;   in Loop: Header=BB5_1547 Depth=1
	s_cbranch_execz .LBB5_1595
	s_branch .LBB5_1596
.LBB5_1594:                             ;   in Loop: Header=BB5_1547 Depth=1
.LBB5_1595:                             ;   in Loop: Header=BB5_1547 Depth=1
	global_load_dwordx2 v[23:24], v6, s[4:5]
.LBB5_1596:                             ;   in Loop: Header=BB5_1547 Depth=1
	v_readfirstlane_b32 s4, v49
	s_waitcnt vmcnt(0)
	v_mov_b32_e32 v4, 0
	v_mov_b32_e32 v5, 0
	v_cmp_eq_u32_e64 s4, s4, v49
	s_and_saveexec_b32 s5, s4
	s_cbranch_execz .LBB5_1602
; %bb.1597:                             ;   in Loop: Header=BB5_1547 Depth=1
	global_load_dwordx2 v[27:28], v6, s[26:27] offset:24 glc dlc
	s_waitcnt vmcnt(0)
	buffer_gl1_inv
	buffer_gl0_inv
	s_clause 0x1
	global_load_dwordx2 v[4:5], v6, s[26:27] offset:40
	global_load_dwordx2 v[9:10], v6, s[26:27]
	s_mov_b32 s15, exec_lo
	s_waitcnt vmcnt(1)
	v_and_b32_e32 v5, v5, v28
	v_and_b32_e32 v4, v4, v27
	v_mul_lo_u32 v5, v5, 24
	v_mul_hi_u32 v25, v4, 24
	v_mul_lo_u32 v4, v4, 24
	v_add_nc_u32_e32 v5, v25, v5
	s_waitcnt vmcnt(0)
	v_add_co_u32 v4, vcc_lo, v9, v4
	v_add_co_ci_u32_e32 v5, vcc_lo, v10, v5, vcc_lo
	global_load_dwordx2 v[25:26], v[4:5], off glc dlc
	s_waitcnt vmcnt(0)
	global_atomic_cmpswap_x2 v[4:5], v6, v[25:28], s[26:27] offset:24 glc
	s_waitcnt vmcnt(0)
	buffer_gl1_inv
	buffer_gl0_inv
	v_cmpx_ne_u64_e64 v[4:5], v[27:28]
	s_cbranch_execz .LBB5_1601
; %bb.1598:                             ;   in Loop: Header=BB5_1547 Depth=1
	s_mov_b32 s18, 0
	.p2align	6
.LBB5_1599:                             ;   Parent Loop BB5_1547 Depth=1
                                        ; =>  This Inner Loop Header: Depth=2
	s_sleep 1
	s_clause 0x1
	global_load_dwordx2 v[9:10], v6, s[26:27] offset:40
	global_load_dwordx2 v[25:26], v6, s[26:27]
	v_mov_b32_e32 v28, v5
	v_mov_b32_e32 v27, v4
	s_waitcnt vmcnt(1)
	v_and_b32_e32 v4, v9, v27
	v_and_b32_e32 v9, v10, v28
	s_waitcnt vmcnt(0)
	v_mad_u64_u32 v[4:5], null, v4, 24, v[25:26]
	v_mad_u64_u32 v[9:10], null, v9, 24, v[5:6]
	v_mov_b32_e32 v5, v9
	global_load_dwordx2 v[25:26], v[4:5], off glc dlc
	s_waitcnt vmcnt(0)
	global_atomic_cmpswap_x2 v[4:5], v6, v[25:28], s[26:27] offset:24 glc
	s_waitcnt vmcnt(0)
	buffer_gl1_inv
	buffer_gl0_inv
	v_cmp_eq_u64_e32 vcc_lo, v[4:5], v[27:28]
	s_or_b32 s18, vcc_lo, s18
	s_andn2_b32 exec_lo, exec_lo, s18
	s_cbranch_execnz .LBB5_1599
; %bb.1600:                             ;   in Loop: Header=BB5_1547 Depth=1
	s_or_b32 exec_lo, exec_lo, s18
.LBB5_1601:                             ;   in Loop: Header=BB5_1547 Depth=1
	s_or_b32 exec_lo, exec_lo, s15
.LBB5_1602:                             ;   in Loop: Header=BB5_1547 Depth=1
	s_or_b32 exec_lo, exec_lo, s5
	s_clause 0x1
	global_load_dwordx2 v[9:10], v6, s[26:27] offset:40
	global_load_dwordx4 v[25:28], v6, s[26:27]
	v_readfirstlane_b32 s18, v4
	v_readfirstlane_b32 s19, v5
	s_mov_b32 s5, exec_lo
	s_waitcnt vmcnt(1)
	v_readfirstlane_b32 s20, v9
	v_readfirstlane_b32 s21, v10
	s_and_b64 s[20:21], s[18:19], s[20:21]
	s_mul_i32 s15, s21, 24
	s_mul_hi_u32 s22, s20, 24
	s_mul_i32 s23, s20, 24
	s_add_i32 s22, s22, s15
	s_waitcnt vmcnt(0)
	v_add_co_u32 v29, vcc_lo, v25, s23
	v_add_co_ci_u32_e32 v30, vcc_lo, s22, v26, vcc_lo
	s_and_saveexec_b32 s15, s4
	s_cbranch_execz .LBB5_1604
; %bb.1603:                             ;   in Loop: Header=BB5_1547 Depth=1
	v_mov_b32_e32 v5, s5
	global_store_dwordx4 v[29:30], v[5:8], off offset:8
.LBB5_1604:                             ;   in Loop: Header=BB5_1547 Depth=1
	s_or_b32 exec_lo, exec_lo, s15
	s_lshl_b64 s[20:21], s[20:21], 12
	v_cmp_gt_u64_e64 vcc_lo, s[10:11], 56
	v_or_b32_e32 v5, v2, v31
	v_add_co_u32 v27, s5, v27, s20
	v_add_co_ci_u32_e64 v28, s5, s21, v28, s5
	s_lshl_b32 s5, s16, 2
	v_or_b32_e32 v4, 0, v3
	v_cndmask_b32_e32 v2, v5, v2, vcc_lo
	s_add_i32 s5, s5, 28
	v_readfirstlane_b32 s20, v27
	s_and_b32 s5, s5, 0x1e0
	v_cndmask_b32_e32 v10, v4, v3, vcc_lo
	v_readfirstlane_b32 s21, v28
	v_and_or_b32 v9, 0xffffff1f, v2, s5
	global_store_dwordx4 v48, v[9:12], s[20:21]
	global_store_dwordx4 v48, v[13:16], s[20:21] offset:16
	global_store_dwordx4 v48, v[17:20], s[20:21] offset:32
	;; [unrolled: 1-line block ×3, first 2 shown]
	s_and_saveexec_b32 s5, s4
	s_cbranch_execz .LBB5_1612
; %bb.1605:                             ;   in Loop: Header=BB5_1547 Depth=1
	s_clause 0x1
	global_load_dwordx2 v[13:14], v6, s[26:27] offset:32 glc dlc
	global_load_dwordx2 v[2:3], v6, s[26:27] offset:40
	v_mov_b32_e32 v11, s18
	v_mov_b32_e32 v12, s19
	s_waitcnt vmcnt(0)
	v_readfirstlane_b32 s20, v2
	v_readfirstlane_b32 s21, v3
	s_and_b64 s[20:21], s[20:21], s[18:19]
	s_mul_i32 s15, s21, 24
	s_mul_hi_u32 s21, s20, 24
	s_mul_i32 s20, s20, 24
	s_add_i32 s21, s21, s15
	v_add_co_u32 v9, vcc_lo, v25, s20
	v_add_co_ci_u32_e32 v10, vcc_lo, s21, v26, vcc_lo
	s_mov_b32 s15, exec_lo
	global_store_dwordx2 v[9:10], v[13:14], off
	s_waitcnt_vscnt null, 0x0
	global_atomic_cmpswap_x2 v[4:5], v6, v[11:14], s[26:27] offset:32 glc
	s_waitcnt vmcnt(0)
	v_cmpx_ne_u64_e64 v[4:5], v[13:14]
	s_cbranch_execz .LBB5_1608
; %bb.1606:                             ;   in Loop: Header=BB5_1547 Depth=1
	s_mov_b32 s20, 0
.LBB5_1607:                             ;   Parent Loop BB5_1547 Depth=1
                                        ; =>  This Inner Loop Header: Depth=2
	v_mov_b32_e32 v2, s18
	v_mov_b32_e32 v3, s19
	s_sleep 1
	global_store_dwordx2 v[9:10], v[4:5], off
	s_waitcnt_vscnt null, 0x0
	global_atomic_cmpswap_x2 v[2:3], v6, v[2:5], s[26:27] offset:32 glc
	s_waitcnt vmcnt(0)
	v_cmp_eq_u64_e32 vcc_lo, v[2:3], v[4:5]
	v_mov_b32_e32 v5, v3
	v_mov_b32_e32 v4, v2
	s_or_b32 s20, vcc_lo, s20
	s_andn2_b32 exec_lo, exec_lo, s20
	s_cbranch_execnz .LBB5_1607
.LBB5_1608:                             ;   in Loop: Header=BB5_1547 Depth=1
	s_or_b32 exec_lo, exec_lo, s15
	global_load_dwordx2 v[2:3], v6, s[26:27] offset:16
	s_mov_b32 s20, exec_lo
	s_mov_b32 s15, exec_lo
	v_mbcnt_lo_u32_b32 v4, s20, 0
	v_cmpx_eq_u32_e32 0, v4
	s_cbranch_execz .LBB5_1610
; %bb.1609:                             ;   in Loop: Header=BB5_1547 Depth=1
	s_bcnt1_i32_b32 s20, s20
	v_mov_b32_e32 v5, s20
	s_waitcnt vmcnt(0)
	global_atomic_add_x2 v[2:3], v[5:6], off offset:8
.LBB5_1610:                             ;   in Loop: Header=BB5_1547 Depth=1
	s_or_b32 exec_lo, exec_lo, s15
	s_waitcnt vmcnt(0)
	global_load_dwordx2 v[9:10], v[2:3], off offset:16
	s_waitcnt vmcnt(0)
	v_cmp_eq_u64_e32 vcc_lo, 0, v[9:10]
	s_cbranch_vccnz .LBB5_1612
; %bb.1611:                             ;   in Loop: Header=BB5_1547 Depth=1
	global_load_dword v5, v[2:3], off offset:24
	s_waitcnt vmcnt(0)
	v_and_b32_e32 v2, 0x7fffff, v5
	s_waitcnt_vscnt null, 0x0
	global_store_dwordx2 v[9:10], v[5:6], off
	v_readfirstlane_b32 m0, v2
	s_sendmsg sendmsg(MSG_INTERRUPT)
.LBB5_1612:                             ;   in Loop: Header=BB5_1547 Depth=1
	s_or_b32 exec_lo, exec_lo, s5
	v_add_co_u32 v2, vcc_lo, v27, v48
	v_add_co_ci_u32_e32 v3, vcc_lo, 0, v28, vcc_lo
	s_branch .LBB5_1616
	.p2align	6
.LBB5_1613:                             ;   in Loop: Header=BB5_1616 Depth=2
	s_or_b32 exec_lo, exec_lo, s5
	v_readfirstlane_b32 s5, v4
	s_cmp_eq_u32 s5, 0
	s_cbranch_scc1 .LBB5_1615
; %bb.1614:                             ;   in Loop: Header=BB5_1616 Depth=2
	s_sleep 1
	s_cbranch_execnz .LBB5_1616
	s_branch .LBB5_1618
	.p2align	6
.LBB5_1615:                             ;   in Loop: Header=BB5_1547 Depth=1
	s_branch .LBB5_1618
.LBB5_1616:                             ;   Parent Loop BB5_1547 Depth=1
                                        ; =>  This Inner Loop Header: Depth=2
	v_mov_b32_e32 v4, 1
	s_and_saveexec_b32 s5, s4
	s_cbranch_execz .LBB5_1613
; %bb.1617:                             ;   in Loop: Header=BB5_1616 Depth=2
	global_load_dword v4, v[29:30], off offset:20 glc dlc
	s_waitcnt vmcnt(0)
	buffer_gl1_inv
	buffer_gl0_inv
	v_and_b32_e32 v4, 1, v4
	s_branch .LBB5_1613
.LBB5_1618:                             ;   in Loop: Header=BB5_1547 Depth=1
	global_load_dwordx4 v[2:5], v[2:3], off
	s_and_saveexec_b32 s5, s4
	s_cbranch_execz .LBB5_1546
; %bb.1619:                             ;   in Loop: Header=BB5_1547 Depth=1
	s_clause 0x2
	global_load_dwordx2 v[4:5], v6, s[26:27] offset:40
	global_load_dwordx2 v[13:14], v6, s[26:27] offset:24 glc dlc
	global_load_dwordx2 v[11:12], v6, s[26:27]
	s_waitcnt vmcnt(2)
	v_add_co_u32 v15, vcc_lo, v4, 1
	v_add_co_ci_u32_e32 v16, vcc_lo, 0, v5, vcc_lo
	v_add_co_u32 v9, vcc_lo, v15, s18
	v_add_co_ci_u32_e32 v10, vcc_lo, s19, v16, vcc_lo
	v_cmp_eq_u64_e32 vcc_lo, 0, v[9:10]
	v_cndmask_b32_e32 v10, v10, v16, vcc_lo
	v_cndmask_b32_e32 v9, v9, v15, vcc_lo
	v_and_b32_e32 v5, v10, v5
	v_and_b32_e32 v4, v9, v4
	v_mul_lo_u32 v5, v5, 24
	v_mul_hi_u32 v15, v4, 24
	v_mul_lo_u32 v4, v4, 24
	v_add_nc_u32_e32 v5, v15, v5
	s_waitcnt vmcnt(0)
	v_add_co_u32 v4, vcc_lo, v11, v4
	v_mov_b32_e32 v11, v13
	v_add_co_ci_u32_e32 v5, vcc_lo, v12, v5, vcc_lo
	v_mov_b32_e32 v12, v14
	global_store_dwordx2 v[4:5], v[13:14], off
	s_waitcnt_vscnt null, 0x0
	global_atomic_cmpswap_x2 v[11:12], v6, v[9:12], s[26:27] offset:24 glc
	s_waitcnt vmcnt(0)
	v_cmp_ne_u64_e32 vcc_lo, v[11:12], v[13:14]
	s_and_b32 exec_lo, exec_lo, vcc_lo
	s_cbranch_execz .LBB5_1546
; %bb.1620:                             ;   in Loop: Header=BB5_1547 Depth=1
	s_mov_b32 s4, 0
.LBB5_1621:                             ;   Parent Loop BB5_1547 Depth=1
                                        ; =>  This Inner Loop Header: Depth=2
	s_sleep 1
	global_store_dwordx2 v[4:5], v[11:12], off
	s_waitcnt_vscnt null, 0x0
	global_atomic_cmpswap_x2 v[13:14], v6, v[9:12], s[26:27] offset:24 glc
	s_waitcnt vmcnt(0)
	v_cmp_eq_u64_e32 vcc_lo, v[13:14], v[11:12]
	v_mov_b32_e32 v11, v13
	v_mov_b32_e32 v12, v14
	s_or_b32 s4, vcc_lo, s4
	s_andn2_b32 exec_lo, exec_lo, s4
	s_cbranch_execnz .LBB5_1621
	s_branch .LBB5_1546
.LBB5_1622:
	s_branch .LBB5_1651
.LBB5_1623:
                                        ; implicit-def: $vgpr2_vgpr3
	s_cbranch_execz .LBB5_1651
; %bb.1624:
	v_readfirstlane_b32 s4, v49
	v_mov_b32_e32 v8, 0
	v_mov_b32_e32 v9, 0
	v_cmp_eq_u32_e64 s4, s4, v49
	s_and_saveexec_b32 s5, s4
	s_cbranch_execz .LBB5_1630
; %bb.1625:
	s_waitcnt vmcnt(0)
	v_mov_b32_e32 v2, 0
	s_mov_b32 s6, exec_lo
	global_load_dwordx2 v[5:6], v2, s[26:27] offset:24 glc dlc
	s_waitcnt vmcnt(0)
	buffer_gl1_inv
	buffer_gl0_inv
	s_clause 0x1
	global_load_dwordx2 v[3:4], v2, s[26:27] offset:40
	global_load_dwordx2 v[7:8], v2, s[26:27]
	s_waitcnt vmcnt(1)
	v_and_b32_e32 v4, v4, v6
	v_and_b32_e32 v3, v3, v5
	v_mul_lo_u32 v4, v4, 24
	v_mul_hi_u32 v9, v3, 24
	v_mul_lo_u32 v3, v3, 24
	v_add_nc_u32_e32 v4, v9, v4
	s_waitcnt vmcnt(0)
	v_add_co_u32 v3, vcc_lo, v7, v3
	v_add_co_ci_u32_e32 v4, vcc_lo, v8, v4, vcc_lo
	global_load_dwordx2 v[3:4], v[3:4], off glc dlc
	s_waitcnt vmcnt(0)
	global_atomic_cmpswap_x2 v[8:9], v2, v[3:6], s[26:27] offset:24 glc
	s_waitcnt vmcnt(0)
	buffer_gl1_inv
	buffer_gl0_inv
	v_cmpx_ne_u64_e64 v[8:9], v[5:6]
	s_cbranch_execz .LBB5_1629
; %bb.1626:
	s_mov_b32 s7, 0
	.p2align	6
.LBB5_1627:                             ; =>This Inner Loop Header: Depth=1
	s_sleep 1
	s_clause 0x1
	global_load_dwordx2 v[3:4], v2, s[26:27] offset:40
	global_load_dwordx2 v[10:11], v2, s[26:27]
	v_mov_b32_e32 v5, v8
	v_mov_b32_e32 v6, v9
	s_waitcnt vmcnt(1)
	v_and_b32_e32 v3, v3, v5
	v_and_b32_e32 v4, v4, v6
	s_waitcnt vmcnt(0)
	v_mad_u64_u32 v[7:8], null, v3, 24, v[10:11]
	v_mov_b32_e32 v3, v8
	v_mad_u64_u32 v[3:4], null, v4, 24, v[3:4]
	v_mov_b32_e32 v8, v3
	global_load_dwordx2 v[3:4], v[7:8], off glc dlc
	s_waitcnt vmcnt(0)
	global_atomic_cmpswap_x2 v[8:9], v2, v[3:6], s[26:27] offset:24 glc
	s_waitcnt vmcnt(0)
	buffer_gl1_inv
	buffer_gl0_inv
	v_cmp_eq_u64_e32 vcc_lo, v[8:9], v[5:6]
	s_or_b32 s7, vcc_lo, s7
	s_andn2_b32 exec_lo, exec_lo, s7
	s_cbranch_execnz .LBB5_1627
; %bb.1628:
	s_or_b32 exec_lo, exec_lo, s7
.LBB5_1629:
	s_or_b32 exec_lo, exec_lo, s6
.LBB5_1630:
	s_or_b32 exec_lo, exec_lo, s5
	s_waitcnt vmcnt(0)
	v_mov_b32_e32 v2, 0
	v_readfirstlane_b32 s6, v8
	v_readfirstlane_b32 s7, v9
	s_mov_b32 s5, exec_lo
	s_clause 0x1
	global_load_dwordx2 v[10:11], v2, s[26:27] offset:40
	global_load_dwordx4 v[4:7], v2, s[26:27]
	s_waitcnt vmcnt(1)
	v_readfirstlane_b32 s10, v10
	v_readfirstlane_b32 s11, v11
	s_and_b64 s[10:11], s[6:7], s[10:11]
	s_mul_i32 s15, s11, 24
	s_mul_hi_u32 s16, s10, 24
	s_mul_i32 s17, s10, 24
	s_add_i32 s16, s16, s15
	s_waitcnt vmcnt(0)
	v_add_co_u32 v8, vcc_lo, v4, s17
	v_add_co_ci_u32_e32 v9, vcc_lo, s16, v5, vcc_lo
	s_and_saveexec_b32 s15, s4
	s_cbranch_execz .LBB5_1632
; %bb.1631:
	v_mov_b32_e32 v10, s5
	v_mov_b32_e32 v11, v2
	;; [unrolled: 1-line block ×4, first 2 shown]
	global_store_dwordx4 v[8:9], v[10:13], off offset:8
.LBB5_1632:
	s_or_b32 exec_lo, exec_lo, s15
	s_lshl_b64 s[10:11], s[10:11], 12
	s_mov_b32 s16, 0
	v_add_co_u32 v6, vcc_lo, v6, s10
	v_add_co_ci_u32_e32 v7, vcc_lo, s11, v7, vcc_lo
	s_mov_b32 s17, s16
	v_readfirstlane_b32 s10, v6
	v_add_co_u32 v6, vcc_lo, v6, v48
	s_mov_b32 s18, s16
	s_mov_b32 s19, s16
	v_and_or_b32 v0, 0xffffff1f, v0, 32
	v_mov_b32_e32 v3, v2
	v_readfirstlane_b32 s11, v7
	v_mov_b32_e32 v10, s16
	v_add_co_ci_u32_e32 v7, vcc_lo, 0, v7, vcc_lo
	v_mov_b32_e32 v11, s17
	v_mov_b32_e32 v12, s18
	;; [unrolled: 1-line block ×3, first 2 shown]
	global_store_dwordx4 v48, v[0:3], s[10:11]
	global_store_dwordx4 v48, v[10:13], s[10:11] offset:16
	global_store_dwordx4 v48, v[10:13], s[10:11] offset:32
	;; [unrolled: 1-line block ×3, first 2 shown]
	s_and_saveexec_b32 s5, s4
	s_cbranch_execz .LBB5_1640
; %bb.1633:
	v_mov_b32_e32 v10, 0
	v_mov_b32_e32 v11, s6
	;; [unrolled: 1-line block ×3, first 2 shown]
	s_clause 0x1
	global_load_dwordx2 v[13:14], v10, s[26:27] offset:32 glc dlc
	global_load_dwordx2 v[0:1], v10, s[26:27] offset:40
	s_waitcnt vmcnt(0)
	v_readfirstlane_b32 s10, v0
	v_readfirstlane_b32 s11, v1
	s_and_b64 s[10:11], s[10:11], s[6:7]
	s_mul_i32 s11, s11, 24
	s_mul_hi_u32 s15, s10, 24
	s_mul_i32 s10, s10, 24
	s_add_i32 s15, s15, s11
	v_add_co_u32 v4, vcc_lo, v4, s10
	v_add_co_ci_u32_e32 v5, vcc_lo, s15, v5, vcc_lo
	s_mov_b32 s10, exec_lo
	global_store_dwordx2 v[4:5], v[13:14], off
	s_waitcnt_vscnt null, 0x0
	global_atomic_cmpswap_x2 v[2:3], v10, v[11:14], s[26:27] offset:32 glc
	s_waitcnt vmcnt(0)
	v_cmpx_ne_u64_e64 v[2:3], v[13:14]
	s_cbranch_execz .LBB5_1636
; %bb.1634:
	s_mov_b32 s11, 0
.LBB5_1635:                             ; =>This Inner Loop Header: Depth=1
	v_mov_b32_e32 v0, s6
	v_mov_b32_e32 v1, s7
	s_sleep 1
	global_store_dwordx2 v[4:5], v[2:3], off
	s_waitcnt_vscnt null, 0x0
	global_atomic_cmpswap_x2 v[0:1], v10, v[0:3], s[26:27] offset:32 glc
	s_waitcnt vmcnt(0)
	v_cmp_eq_u64_e32 vcc_lo, v[0:1], v[2:3]
	v_mov_b32_e32 v3, v1
	v_mov_b32_e32 v2, v0
	s_or_b32 s11, vcc_lo, s11
	s_andn2_b32 exec_lo, exec_lo, s11
	s_cbranch_execnz .LBB5_1635
.LBB5_1636:
	s_or_b32 exec_lo, exec_lo, s10
	v_mov_b32_e32 v3, 0
	s_mov_b32 s11, exec_lo
	s_mov_b32 s10, exec_lo
	v_mbcnt_lo_u32_b32 v2, s11, 0
	global_load_dwordx2 v[0:1], v3, s[26:27] offset:16
	v_cmpx_eq_u32_e32 0, v2
	s_cbranch_execz .LBB5_1638
; %bb.1637:
	s_bcnt1_i32_b32 s11, s11
	v_mov_b32_e32 v2, s11
	s_waitcnt vmcnt(0)
	global_atomic_add_x2 v[0:1], v[2:3], off offset:8
.LBB5_1638:
	s_or_b32 exec_lo, exec_lo, s10
	s_waitcnt vmcnt(0)
	global_load_dwordx2 v[2:3], v[0:1], off offset:16
	s_waitcnt vmcnt(0)
	v_cmp_eq_u64_e32 vcc_lo, 0, v[2:3]
	s_cbranch_vccnz .LBB5_1640
; %bb.1639:
	global_load_dword v0, v[0:1], off offset:24
	v_mov_b32_e32 v1, 0
	s_waitcnt vmcnt(0)
	v_and_b32_e32 v4, 0x7fffff, v0
	s_waitcnt_vscnt null, 0x0
	global_store_dwordx2 v[2:3], v[0:1], off
	v_readfirstlane_b32 m0, v4
	s_sendmsg sendmsg(MSG_INTERRUPT)
.LBB5_1640:
	s_or_b32 exec_lo, exec_lo, s5
	s_branch .LBB5_1644
	.p2align	6
.LBB5_1641:                             ;   in Loop: Header=BB5_1644 Depth=1
	s_or_b32 exec_lo, exec_lo, s5
	v_readfirstlane_b32 s5, v0
	s_cmp_eq_u32 s5, 0
	s_cbranch_scc1 .LBB5_1643
; %bb.1642:                             ;   in Loop: Header=BB5_1644 Depth=1
	s_sleep 1
	s_cbranch_execnz .LBB5_1644
	s_branch .LBB5_1646
	.p2align	6
.LBB5_1643:
	s_branch .LBB5_1646
.LBB5_1644:                             ; =>This Inner Loop Header: Depth=1
	v_mov_b32_e32 v0, 1
	s_and_saveexec_b32 s5, s4
	s_cbranch_execz .LBB5_1641
; %bb.1645:                             ;   in Loop: Header=BB5_1644 Depth=1
	global_load_dword v0, v[8:9], off offset:20 glc dlc
	s_waitcnt vmcnt(0)
	buffer_gl1_inv
	buffer_gl0_inv
	v_and_b32_e32 v0, 1, v0
	s_branch .LBB5_1641
.LBB5_1646:
	global_load_dwordx2 v[2:3], v[6:7], off
	s_and_saveexec_b32 s5, s4
	s_cbranch_execz .LBB5_1650
; %bb.1647:
	v_mov_b32_e32 v8, 0
	s_clause 0x2
	global_load_dwordx2 v[0:1], v8, s[26:27] offset:40
	global_load_dwordx2 v[9:10], v8, s[26:27] offset:24 glc dlc
	global_load_dwordx2 v[6:7], v8, s[26:27]
	s_waitcnt vmcnt(2)
	v_add_co_u32 v11, vcc_lo, v0, 1
	v_add_co_ci_u32_e32 v12, vcc_lo, 0, v1, vcc_lo
	v_add_co_u32 v4, vcc_lo, v11, s6
	v_add_co_ci_u32_e32 v5, vcc_lo, s7, v12, vcc_lo
	v_cmp_eq_u64_e32 vcc_lo, 0, v[4:5]
	v_cndmask_b32_e32 v5, v5, v12, vcc_lo
	v_cndmask_b32_e32 v4, v4, v11, vcc_lo
	v_and_b32_e32 v1, v5, v1
	v_and_b32_e32 v0, v4, v0
	v_mul_lo_u32 v1, v1, 24
	v_mul_hi_u32 v11, v0, 24
	v_mul_lo_u32 v0, v0, 24
	v_add_nc_u32_e32 v1, v11, v1
	s_waitcnt vmcnt(0)
	v_add_co_u32 v0, vcc_lo, v6, v0
	v_mov_b32_e32 v6, v9
	v_add_co_ci_u32_e32 v1, vcc_lo, v7, v1, vcc_lo
	v_mov_b32_e32 v7, v10
	global_store_dwordx2 v[0:1], v[9:10], off
	s_waitcnt_vscnt null, 0x0
	global_atomic_cmpswap_x2 v[6:7], v8, v[4:7], s[26:27] offset:24 glc
	s_waitcnt vmcnt(0)
	v_cmp_ne_u64_e32 vcc_lo, v[6:7], v[9:10]
	s_and_b32 exec_lo, exec_lo, vcc_lo
	s_cbranch_execz .LBB5_1650
; %bb.1648:
	s_mov_b32 s4, 0
.LBB5_1649:                             ; =>This Inner Loop Header: Depth=1
	s_sleep 1
	global_store_dwordx2 v[0:1], v[6:7], off
	s_waitcnt_vscnt null, 0x0
	global_atomic_cmpswap_x2 v[9:10], v8, v[4:7], s[26:27] offset:24 glc
	s_waitcnt vmcnt(0)
	v_cmp_eq_u64_e32 vcc_lo, v[9:10], v[6:7]
	v_mov_b32_e32 v6, v9
	v_mov_b32_e32 v7, v10
	s_or_b32 s4, vcc_lo, s4
	s_andn2_b32 exec_lo, exec_lo, s4
	s_cbranch_execnz .LBB5_1649
.LBB5_1650:
	s_or_b32 exec_lo, exec_lo, s5
.LBB5_1651:
	v_readfirstlane_b32 s4, v49
	s_waitcnt vmcnt(0)
	v_mov_b32_e32 v0, 0
	v_mov_b32_e32 v1, 0
	v_cmp_eq_u32_e64 s4, s4, v49
	s_and_saveexec_b32 s5, s4
	s_cbranch_execz .LBB5_1657
; %bb.1652:
	v_mov_b32_e32 v4, 0
	s_mov_b32 s6, exec_lo
	global_load_dwordx2 v[7:8], v4, s[26:27] offset:24 glc dlc
	s_waitcnt vmcnt(0)
	buffer_gl1_inv
	buffer_gl0_inv
	s_clause 0x1
	global_load_dwordx2 v[0:1], v4, s[26:27] offset:40
	global_load_dwordx2 v[5:6], v4, s[26:27]
	s_waitcnt vmcnt(1)
	v_and_b32_e32 v1, v1, v8
	v_and_b32_e32 v0, v0, v7
	v_mul_lo_u32 v1, v1, 24
	v_mul_hi_u32 v9, v0, 24
	v_mul_lo_u32 v0, v0, 24
	v_add_nc_u32_e32 v1, v9, v1
	s_waitcnt vmcnt(0)
	v_add_co_u32 v0, vcc_lo, v5, v0
	v_add_co_ci_u32_e32 v1, vcc_lo, v6, v1, vcc_lo
	global_load_dwordx2 v[5:6], v[0:1], off glc dlc
	s_waitcnt vmcnt(0)
	global_atomic_cmpswap_x2 v[0:1], v4, v[5:8], s[26:27] offset:24 glc
	s_waitcnt vmcnt(0)
	buffer_gl1_inv
	buffer_gl0_inv
	v_cmpx_ne_u64_e64 v[0:1], v[7:8]
	s_cbranch_execz .LBB5_1656
; %bb.1653:
	s_mov_b32 s7, 0
	.p2align	6
.LBB5_1654:                             ; =>This Inner Loop Header: Depth=1
	s_sleep 1
	s_clause 0x1
	global_load_dwordx2 v[5:6], v4, s[26:27] offset:40
	global_load_dwordx2 v[9:10], v4, s[26:27]
	v_mov_b32_e32 v8, v1
	v_mov_b32_e32 v7, v0
	s_waitcnt vmcnt(1)
	v_and_b32_e32 v0, v5, v7
	v_and_b32_e32 v5, v6, v8
	s_waitcnt vmcnt(0)
	v_mad_u64_u32 v[0:1], null, v0, 24, v[9:10]
	v_mad_u64_u32 v[5:6], null, v5, 24, v[1:2]
	v_mov_b32_e32 v1, v5
	global_load_dwordx2 v[5:6], v[0:1], off glc dlc
	s_waitcnt vmcnt(0)
	global_atomic_cmpswap_x2 v[0:1], v4, v[5:8], s[26:27] offset:24 glc
	s_waitcnt vmcnt(0)
	buffer_gl1_inv
	buffer_gl0_inv
	v_cmp_eq_u64_e32 vcc_lo, v[0:1], v[7:8]
	s_or_b32 s7, vcc_lo, s7
	s_andn2_b32 exec_lo, exec_lo, s7
	s_cbranch_execnz .LBB5_1654
; %bb.1655:
	s_or_b32 exec_lo, exec_lo, s7
.LBB5_1656:
	s_or_b32 exec_lo, exec_lo, s6
.LBB5_1657:
	s_or_b32 exec_lo, exec_lo, s5
	v_mov_b32_e32 v5, 0
	v_readfirstlane_b32 s6, v0
	v_readfirstlane_b32 s7, v1
	s_mov_b32 s5, exec_lo
	s_clause 0x1
	global_load_dwordx2 v[10:11], v5, s[26:27] offset:40
	global_load_dwordx4 v[6:9], v5, s[26:27]
	s_waitcnt vmcnt(1)
	v_readfirstlane_b32 s10, v10
	v_readfirstlane_b32 s11, v11
	s_and_b64 s[10:11], s[6:7], s[10:11]
	s_mul_i32 s15, s11, 24
	s_mul_hi_u32 s16, s10, 24
	s_mul_i32 s17, s10, 24
	s_add_i32 s16, s16, s15
	s_waitcnt vmcnt(0)
	v_add_co_u32 v10, vcc_lo, v6, s17
	v_add_co_ci_u32_e32 v11, vcc_lo, s16, v7, vcc_lo
	s_and_saveexec_b32 s15, s4
	s_cbranch_execz .LBB5_1659
; %bb.1658:
	v_mov_b32_e32 v4, s5
	v_mov_b32_e32 v13, v5
	;; [unrolled: 1-line block ×5, first 2 shown]
	global_store_dwordx4 v[10:11], v[12:15], off offset:8
.LBB5_1659:
	s_or_b32 exec_lo, exec_lo, s15
	s_lshl_b64 s[10:11], s[10:11], 12
	s_mov_b32 s16, 0
	v_add_co_u32 v0, vcc_lo, v8, s10
	v_add_co_ci_u32_e32 v1, vcc_lo, s11, v9, vcc_lo
	s_mov_b32 s17, s16
	s_mov_b32 s18, s16
	;; [unrolled: 1-line block ×3, first 2 shown]
	v_and_or_b32 v2, 0xffffff1d, v2, 34
	v_mov_b32_e32 v4, 10
	v_readfirstlane_b32 s10, v0
	v_readfirstlane_b32 s11, v1
	v_mov_b32_e32 v12, s16
	v_mov_b32_e32 v13, s17
	;; [unrolled: 1-line block ×4, first 2 shown]
	global_store_dwordx4 v48, v[2:5], s[10:11]
	global_store_dwordx4 v48, v[12:15], s[10:11] offset:16
	global_store_dwordx4 v48, v[12:15], s[10:11] offset:32
	;; [unrolled: 1-line block ×3, first 2 shown]
	s_and_saveexec_b32 s5, s4
	s_cbranch_execz .LBB5_1667
; %bb.1660:
	v_mov_b32_e32 v8, 0
	v_mov_b32_e32 v12, s6
	;; [unrolled: 1-line block ×3, first 2 shown]
	s_clause 0x1
	global_load_dwordx2 v[14:15], v8, s[26:27] offset:32 glc dlc
	global_load_dwordx2 v[0:1], v8, s[26:27] offset:40
	s_waitcnt vmcnt(0)
	v_readfirstlane_b32 s10, v0
	v_readfirstlane_b32 s11, v1
	s_and_b64 s[10:11], s[10:11], s[6:7]
	s_mul_i32 s11, s11, 24
	s_mul_hi_u32 s15, s10, 24
	s_mul_i32 s10, s10, 24
	s_add_i32 s15, s15, s11
	v_add_co_u32 v4, vcc_lo, v6, s10
	v_add_co_ci_u32_e32 v5, vcc_lo, s15, v7, vcc_lo
	s_mov_b32 s10, exec_lo
	global_store_dwordx2 v[4:5], v[14:15], off
	s_waitcnt_vscnt null, 0x0
	global_atomic_cmpswap_x2 v[2:3], v8, v[12:15], s[26:27] offset:32 glc
	s_waitcnt vmcnt(0)
	v_cmpx_ne_u64_e64 v[2:3], v[14:15]
	s_cbranch_execz .LBB5_1663
; %bb.1661:
	s_mov_b32 s11, 0
.LBB5_1662:                             ; =>This Inner Loop Header: Depth=1
	v_mov_b32_e32 v0, s6
	v_mov_b32_e32 v1, s7
	s_sleep 1
	global_store_dwordx2 v[4:5], v[2:3], off
	s_waitcnt_vscnt null, 0x0
	global_atomic_cmpswap_x2 v[0:1], v8, v[0:3], s[26:27] offset:32 glc
	s_waitcnt vmcnt(0)
	v_cmp_eq_u64_e32 vcc_lo, v[0:1], v[2:3]
	v_mov_b32_e32 v3, v1
	v_mov_b32_e32 v2, v0
	s_or_b32 s11, vcc_lo, s11
	s_andn2_b32 exec_lo, exec_lo, s11
	s_cbranch_execnz .LBB5_1662
.LBB5_1663:
	s_or_b32 exec_lo, exec_lo, s10
	v_mov_b32_e32 v3, 0
	s_mov_b32 s11, exec_lo
	s_mov_b32 s10, exec_lo
	v_mbcnt_lo_u32_b32 v2, s11, 0
	global_load_dwordx2 v[0:1], v3, s[26:27] offset:16
	v_cmpx_eq_u32_e32 0, v2
	s_cbranch_execz .LBB5_1665
; %bb.1664:
	s_bcnt1_i32_b32 s11, s11
	v_mov_b32_e32 v2, s11
	s_waitcnt vmcnt(0)
	global_atomic_add_x2 v[0:1], v[2:3], off offset:8
.LBB5_1665:
	s_or_b32 exec_lo, exec_lo, s10
	s_waitcnt vmcnt(0)
	global_load_dwordx2 v[2:3], v[0:1], off offset:16
	s_waitcnt vmcnt(0)
	v_cmp_eq_u64_e32 vcc_lo, 0, v[2:3]
	s_cbranch_vccnz .LBB5_1667
; %bb.1666:
	global_load_dword v0, v[0:1], off offset:24
	v_mov_b32_e32 v1, 0
	s_waitcnt vmcnt(0)
	v_and_b32_e32 v4, 0x7fffff, v0
	s_waitcnt_vscnt null, 0x0
	global_store_dwordx2 v[2:3], v[0:1], off
	v_readfirstlane_b32 m0, v4
	s_sendmsg sendmsg(MSG_INTERRUPT)
.LBB5_1667:
	s_or_b32 exec_lo, exec_lo, s5
	s_branch .LBB5_1671
	.p2align	6
.LBB5_1668:                             ;   in Loop: Header=BB5_1671 Depth=1
	s_or_b32 exec_lo, exec_lo, s5
	v_readfirstlane_b32 s5, v0
	s_cmp_eq_u32 s5, 0
	s_cbranch_scc1 .LBB5_1670
; %bb.1669:                             ;   in Loop: Header=BB5_1671 Depth=1
	s_sleep 1
	s_cbranch_execnz .LBB5_1671
	s_branch .LBB5_1673
	.p2align	6
.LBB5_1670:
	s_branch .LBB5_1673
.LBB5_1671:                             ; =>This Inner Loop Header: Depth=1
	v_mov_b32_e32 v0, 1
	s_and_saveexec_b32 s5, s4
	s_cbranch_execz .LBB5_1668
; %bb.1672:                             ;   in Loop: Header=BB5_1671 Depth=1
	global_load_dword v0, v[10:11], off offset:20 glc dlc
	s_waitcnt vmcnt(0)
	buffer_gl1_inv
	buffer_gl0_inv
	v_and_b32_e32 v0, 1, v0
	s_branch .LBB5_1668
.LBB5_1673:
	s_and_saveexec_b32 s5, s4
	s_cbranch_execz .LBB5_1677
; %bb.1674:
	v_mov_b32_e32 v6, 0
	s_clause 0x2
	global_load_dwordx2 v[2:3], v6, s[26:27] offset:40
	global_load_dwordx2 v[7:8], v6, s[26:27] offset:24 glc dlc
	global_load_dwordx2 v[4:5], v6, s[26:27]
	s_waitcnt vmcnt(2)
	v_add_co_u32 v9, vcc_lo, v2, 1
	v_add_co_ci_u32_e32 v10, vcc_lo, 0, v3, vcc_lo
	v_add_co_u32 v0, vcc_lo, v9, s6
	v_add_co_ci_u32_e32 v1, vcc_lo, s7, v10, vcc_lo
	v_cmp_eq_u64_e32 vcc_lo, 0, v[0:1]
	v_cndmask_b32_e32 v1, v1, v10, vcc_lo
	v_cndmask_b32_e32 v0, v0, v9, vcc_lo
	v_and_b32_e32 v3, v1, v3
	v_and_b32_e32 v2, v0, v2
	v_mul_lo_u32 v3, v3, 24
	v_mul_hi_u32 v9, v2, 24
	v_mul_lo_u32 v2, v2, 24
	v_add_nc_u32_e32 v3, v9, v3
	s_waitcnt vmcnt(0)
	v_add_co_u32 v4, vcc_lo, v4, v2
	v_mov_b32_e32 v2, v7
	v_add_co_ci_u32_e32 v5, vcc_lo, v5, v3, vcc_lo
	v_mov_b32_e32 v3, v8
	global_store_dwordx2 v[4:5], v[7:8], off
	s_waitcnt_vscnt null, 0x0
	global_atomic_cmpswap_x2 v[2:3], v6, v[0:3], s[26:27] offset:24 glc
	s_waitcnt vmcnt(0)
	v_cmp_ne_u64_e32 vcc_lo, v[2:3], v[7:8]
	s_and_b32 exec_lo, exec_lo, vcc_lo
	s_cbranch_execz .LBB5_1677
; %bb.1675:
	s_mov_b32 s4, 0
.LBB5_1676:                             ; =>This Inner Loop Header: Depth=1
	s_sleep 1
	global_store_dwordx2 v[4:5], v[2:3], off
	s_waitcnt_vscnt null, 0x0
	global_atomic_cmpswap_x2 v[7:8], v6, v[0:3], s[26:27] offset:24 glc
	s_waitcnt vmcnt(0)
	v_cmp_eq_u64_e32 vcc_lo, v[7:8], v[2:3]
	v_mov_b32_e32 v2, v7
	v_mov_b32_e32 v3, v8
	s_or_b32 s4, vcc_lo, s4
	s_andn2_b32 exec_lo, exec_lo, s4
	s_cbranch_execnz .LBB5_1676
.LBB5_1677:
	s_or_b32 exec_lo, exec_lo, s5
	flat_load_dwordx2 v[0:1], v[36:37]
	s_waitcnt vmcnt(0) lgkmcnt(0)
	flat_load_dword v2, v[0:1]
	s_waitcnt vmcnt(0) lgkmcnt(0)
	v_add_nc_u32_e32 v2, 1, v2
	flat_store_dword v[0:1], v2
.LBB5_1678:
	s_or_b32 exec_lo, exec_lo, s29
	s_getpc_b64 s[4:5]
	s_add_u32 s4, s4, _ZN8migraphx4test4failEv@rel32@lo+4
	s_addc_u32 s5, s5, _ZN8migraphx4test4failEv@rel32@hi+12
	s_swappc_b64 s[30:31], s[4:5]
	; divergent unreachable
.LBB5_1679:
	s_or_b32 exec_lo, exec_lo, s28
	v_readlane_b32 s30, v40, 0
	v_readlane_b32 s31, v40, 1
	;; [unrolled: 1-line block ×3, first 2 shown]
	s_or_saveexec_b32 s5, -1
	buffer_load_dword v40, off, s[0:3], s33 ; 4-byte Folded Reload
	s_mov_b32 exec_lo, s5
	s_addk_i32 s32, 0xfe00
	s_mov_b32 s33, s4
	s_waitcnt vmcnt(0)
	s_setpc_b64 s[30:31]
.Lfunc_end5:
	.size	_ZN8migraphx4test12test_manager6failedINS0_14lhs_expressionIbNS0_3nopEEEPFvvEEEvRKT_PKcSC_SC_iT0_, .Lfunc_end5-_ZN8migraphx4test12test_manager6failedINS0_14lhs_expressionIbNS0_3nopEEEPFvvEEEvRKT_PKcSC_SC_iT0_
                                        ; -- End function
	.section	.AMDGPU.csdata,"",@progbits
; Function info:
; codeLenInByte = 60416
; NumSgprs: 42
; NumVgprs: 50
; ScratchSize: 16
; MemoryBound: 0
	.text
	.protected	gpu_test_kernel         ; -- Begin function gpu_test_kernel
	.globl	gpu_test_kernel
	.p2align	8
	.type	gpu_test_kernel,@function
gpu_test_kernel:                        ; @gpu_test_kernel
; %bb.0:
	s_add_u32 s8, s8, s13
	s_movk_i32 s32, 0x600
	s_addc_u32 s9, s9, 0
	s_setreg_b32 hwreg(HW_REG_FLAT_SCR_LO), s8
	s_setreg_b32 hwreg(HW_REG_FLAT_SCR_HI), s9
	s_mov_b64 s[48:49], s[6:7]
	s_clause 0x1
	s_load_dwordx2 s[6:7], s[6:7], 0x8
	s_load_dword s55, s[48:49], 0x0
	v_mov_b32_e32 v42, v0
	s_add_u32 s0, s0, s13
	s_addc_u32 s1, s1, 0
	s_mov_b32 s52, s12
	s_mov_b32 s53, s11
	;; [unrolled: 1-line block ×3, first 2 shown]
	s_mov_b64 s[56:57], src_private_base
	s_waitcnt lgkmcnt(0)
	v_mov_b32_e32 v0, s7
	v_mov_b32_e32 v3, s6
	s_cmp_lt_i32 s55, 3
	buffer_store_dword v0, off, s[0:3], 0 offset:36
	buffer_store_dword v3, off, s[0:3], 0 offset:32
	s_cbranch_scc1 .LBB6_13
; %bb.1:
	s_cmp_lt_i32 s55, 4
	s_mov_b32 s6, -1
	s_cbranch_scc1 .LBB6_9
; %bb.2:
	s_cmp_lt_i32 s55, 5
	s_cbranch_scc1 .LBB6_6
; %bb.3:
	s_cmp_eq_u32 s55, 5
	s_cbranch_scc0 .LBB6_5
; %bb.4:
	v_mov_b32_e32 v0, 1
	s_add_u32 s50, s48, 16
	s_mov_b64 s[58:59], src_private_base
	v_mov_b32_e32 v45, 2
	s_addc_u32 s51, s49, 0
	v_mov_b32_e32 v46, 3
	s_getpc_b64 s[6:7]
	s_add_u32 s6, s6, .str.29@rel32@lo+4
	s_addc_u32 s7, s7, .str.29@rel32@hi+12
	v_mov_b32_e32 v3, s59
	s_getpc_b64 s[62:63]
	s_add_u32 s62, s62, __PRETTY_FUNCTION__._ZL26integral_const_array_basicRN8migraphx4test12test_managerE@rel32@lo+4
	s_addc_u32 s63, s63, __PRETTY_FUNCTION__._ZL26integral_const_array_basicRN8migraphx4test12test_managerE@rel32@hi+12
	v_mov_b32_e32 v4, 16
	buffer_store_dword v0, off, s[0:3], 0 offset:16
	buffer_store_dword v45, off, s[0:3], 0 offset:20
	;; [unrolled: 1-line block ×4, first 2 shown]
	buffer_store_dword v4, off, s[0:3], 0
	buffer_store_dword v0, off, s[0:3], 0 offset:8
	v_mov_b32_e32 v31, v42
	v_mov_b32_e32 v0, 32
	;; [unrolled: 1-line block ×11, first 2 shown]
	s_mov_b64 s[8:9], s[50:51]
	s_mov_b32 s12, s54
	s_mov_b32 s13, s53
	;; [unrolled: 1-line block ×3, first 2 shown]
	s_getpc_b64 s[64:65]
	s_add_u32 s64, s64, _ZN8migraphx4test12test_manager6failedINS0_10expressionINS0_14lhs_expressionIRiNS0_3nopEEEiNS0_5equalEEEPFvvEEEvRKT_PKcSG_SG_iT0_@rel32@lo+4
	s_addc_u32 s65, s65, _ZN8migraphx4test12test_manager6failedINS0_10expressionINS0_14lhs_expressionIRiNS0_3nopEEEiNS0_5equalEEEPFvvEEEvRKT_PKcSG_SG_iT0_@rel32@hi+12
	s_mov_b64 s[60:61], s[4:5]
	s_swappc_b64 s[30:31], s[64:65]
	s_add_u32 s4, 16, 4
	s_addc_u32 s5, s59, 0
	v_mov_b32_e32 v0, s4
	v_mov_b32_e32 v1, s5
	s_getpc_b64 s[4:5]
	s_add_u32 s4, s4, .str.30@rel32@lo+4
	s_addc_u32 s5, s5, .str.30@rel32@hi+12
	buffer_store_dword v45, off, s[0:3], 0 offset:8
	v_mov_b32_e32 v31, v42
	buffer_store_dword v0, off, s[0:3], 0
	buffer_store_dword v1, off, s[0:3], 0 offset:4
	v_mov_b32_e32 v0, 32
	v_mov_b32_e32 v1, s57
	;; [unrolled: 1-line block ×9, first 2 shown]
	s_mov_b64 s[8:9], s[50:51]
	s_mov_b32 s12, s54
	s_mov_b32 s13, s53
	;; [unrolled: 1-line block ×3, first 2 shown]
	s_swappc_b64 s[30:31], s[64:65]
	s_add_u32 s4, 16, 8
	s_addc_u32 s5, s59, 0
	v_mov_b32_e32 v0, s4
	v_mov_b32_e32 v1, s5
	s_getpc_b64 s[4:5]
	s_add_u32 s4, s4, .str.31@rel32@lo+4
	s_addc_u32 s5, s5, .str.31@rel32@hi+12
	buffer_store_dword v46, off, s[0:3], 0 offset:8
	v_mov_b32_e32 v31, v42
	buffer_store_dword v0, off, s[0:3], 0
	buffer_store_dword v1, off, s[0:3], 0 offset:4
	v_mov_b32_e32 v0, 32
	v_mov_b32_e32 v1, s57
	;; [unrolled: 1-line block ×9, first 2 shown]
	s_mov_b64 s[8:9], s[50:51]
	s_mov_b32 s12, s54
	s_mov_b32 s13, s53
	;; [unrolled: 1-line block ×3, first 2 shown]
	s_swappc_b64 s[30:31], s[64:65]
	v_mov_b32_e32 v1, v43
	v_mov_b32_e32 v2, v44
	s_mov_b64 s[4:5], s[60:61]
.LBB6_5:
	s_mov_b32 s6, 0
.LBB6_6:
	s_andn2_b32 vcc_lo, exec_lo, s6
	s_cbranch_vccnz .LBB6_8
; %bb.7:
	s_load_dwordx2 s[4:5], s[4:5], 0x4
	s_mov_b64 s[42:43], src_shared_base
	v_mov_b32_e32 v44, 1
	v_mov_b32_e32 v31, v42
	;; [unrolled: 1-line block ×4, first 2 shown]
	s_mov_b32 s12, s54
	s_mov_b32 s13, s53
	;; [unrolled: 1-line block ×3, first 2 shown]
	s_waitcnt lgkmcnt(0)
	s_lshr_b32 s4, s4, 16
	v_mul_u32_u24_e32 v1, s5, v1
	s_mul_i32 s4, s4, s5
	s_add_u32 s40, s48, 16
	v_mul_lo_u32 v0, s4, v42
	s_addc_u32 s41, s49, 0
	s_getpc_b64 s[4:5]
	s_add_u32 s4, s4, .str.23@rel32@lo+4
	s_addc_u32 s5, s5, .str.23@rel32@hi+12
	v_mov_b32_e32 v4, s4
	v_mov_b32_e32 v5, s5
	s_mov_b64 s[8:9], s[40:41]
	s_getpc_b64 s[44:45]
	s_add_u32 s44, s44, _ZN8migraphx4test12test_manager6failedINS0_14lhs_expressionIbNS0_3nopEEEPFvvEEEvRKT_PKcSC_SC_iT0_@rel32@lo+4
	s_addc_u32 s45, s45, _ZN8migraphx4test12test_manager6failedINS0_14lhs_expressionIbNS0_3nopEEEPFvvEEEvRKT_PKcSC_SC_iT0_@rel32@hi+12
	v_add3_u32 v41, v0, v1, v2
	v_mov_b32_e32 v0, 32
	v_mov_b32_e32 v1, s57
	v_add_nc_u32_e32 v2, 0x800, v41
	v_add_nc_u32_e32 v43, 0x400, v41
	ds_write_b8 v41, v44 offset:2048
	s_swappc_b64 s[30:31], s[44:45]
	s_getpc_b64 s[4:5]
	s_add_u32 s4, s4, .str.24@rel32@lo+4
	s_addc_u32 s5, s5, .str.24@rel32@hi+12
	v_mov_b32_e32 v31, v42
	v_mov_b32_e32 v0, 32
	;; [unrolled: 1-line block ×8, first 2 shown]
	s_mov_b64 s[8:9], s[40:41]
	s_mov_b32 s12, s54
	s_mov_b32 s13, s53
	;; [unrolled: 1-line block ×3, first 2 shown]
	ds_write_b8 v41, v44 offset:1024
	s_swappc_b64 s[30:31], s[44:45]
	s_getpc_b64 s[4:5]
	s_add_u32 s4, s4, .str.25@rel32@lo+4
	s_addc_u32 s5, s5, .str.25@rel32@hi+12
	v_mov_b32_e32 v31, v42
	v_mov_b32_e32 v0, 32
	;; [unrolled: 1-line block ×8, first 2 shown]
	s_mov_b64 s[8:9], s[40:41]
	s_mov_b32 s12, s54
	s_mov_b32 s13, s53
	;; [unrolled: 1-line block ×3, first 2 shown]
	ds_write_b8 v41, v44
	s_swappc_b64 s[30:31], s[44:45]
.LBB6_8:
	s_mov_b32 s6, 0
.LBB6_9:
	s_andn2_b32 vcc_lo, exec_lo, s6
	s_cbranch_vccnz .LBB6_11
; %bb.10:
	v_mov_b32_e32 v0, 42
	s_add_u32 s8, s48, 16
	s_mov_b64 s[4:5], src_private_base
	v_mov_b32_e32 v1, 16
	s_addc_u32 s9, s49, 0
	s_getpc_b64 s[6:7]
	s_add_u32 s6, s6, .str.21@rel32@lo+4
	s_addc_u32 s7, s7, .str.21@rel32@hi+12
	v_mov_b32_e32 v2, s5
	s_getpc_b64 s[10:11]
	s_add_u32 s10, s10, __PRETTY_FUNCTION__._ZL25make_array_single_elementRN8migraphx4test12test_managerE@rel32@lo+4
	s_addc_u32 s11, s11, __PRETTY_FUNCTION__._ZL25make_array_single_elementRN8migraphx4test12test_managerE@rel32@hi+12
	buffer_store_dword v0, off, s[0:3], 0 offset:16
	buffer_store_dword v1, off, s[0:3], 0
	buffer_store_dword v0, off, s[0:3], 0 offset:8
	buffer_store_dword v2, off, s[0:3], 0 offset:4
	v_mov_b32_e32 v31, v42
	v_mov_b32_e32 v0, 32
	;; [unrolled: 1-line block ×10, first 2 shown]
	s_mov_b32 s12, s54
	s_mov_b32 s13, s53
	;; [unrolled: 1-line block ×3, first 2 shown]
	s_getpc_b64 s[16:17]
	s_add_u32 s16, s16, _ZN8migraphx4test12test_manager6failedINS0_10expressionINS0_14lhs_expressionIRiNS0_3nopEEEiNS0_5equalEEEPFvvEEEvRKT_PKcSG_SG_iT0_@rel32@lo+4
	s_addc_u32 s17, s17, _ZN8migraphx4test12test_manager6failedINS0_10expressionINS0_14lhs_expressionIRiNS0_3nopEEEiNS0_5equalEEEPFvvEEEvRKT_PKcSG_SG_iT0_@rel32@hi+12
	s_swappc_b64 s[30:31], s[16:17]
.LBB6_11:
	s_mov_b32 s4, -1
	s_cbranch_execz .LBB6_14
.LBB6_12:
	s_and_saveexec_b32 s5, s4
	s_endpgm
.LBB6_13:
	s_mov_b32 s4, 0
.LBB6_14:
	s_cmp_gt_i32 s55, 0
	s_mov_b32 s5, -1
	s_cbranch_scc0 .LBB6_20
; %bb.15:
	s_cmp_gt_i32 s55, 1
	s_mov_b32 s4, -1
	s_cbranch_scc0 .LBB6_17
; %bb.16:
	v_mov_b32_e32 v1, 1
	s_add_u32 s50, s48, 16
	v_mov_b32_e32 v43, 2
	s_addc_u32 s51, s49, 0
	s_mov_b64 s[58:59], src_private_base
	v_mov_b32_e32 v44, 3
	s_getpc_b64 s[4:5]
	s_add_u32 s4, s4, .str.15@rel32@lo+4
	s_addc_u32 s5, s5, .str.15@rel32@hi+12
	v_mov_b32_e32 v45, 4
	s_getpc_b64 s[62:63]
	s_add_u32 s62, s62, __PRETTY_FUNCTION__._ZL26make_array_type_conversionRN8migraphx4test12test_managerE@rel32@lo+4
	s_addc_u32 s63, s63, __PRETTY_FUNCTION__._ZL26make_array_type_conversionRN8migraphx4test12test_managerE@rel32@hi+12
	v_mov_b32_e32 v0, 0
	v_mov_b32_e32 v2, s59
	buffer_store_dword v1, off, s[0:3], 0
	buffer_store_dword v43, off, s[0:3], 0 offset:4
	buffer_store_dword v44, off, s[0:3], 0 offset:8
	buffer_store_dword v45, off, s[0:3], 0 offset:12
	buffer_store_dword v2, off, s[0:3], 0 offset:20
	buffer_store_dword v0, off, s[0:3], 0 offset:16
	buffer_store_dword v1, off, s[0:3], 0 offset:24
	v_mov_b32_e32 v31, v42
	v_mov_b32_e32 v0, 32
	;; [unrolled: 1-line block ×10, first 2 shown]
	s_mov_b64 s[8:9], s[50:51]
	s_mov_b32 s12, s54
	s_mov_b32 s13, s53
	;; [unrolled: 1-line block ×3, first 2 shown]
	s_getpc_b64 s[60:61]
	s_add_u32 s60, s60, _ZN8migraphx4test12test_manager6failedINS0_10expressionINS0_14lhs_expressionIRiNS0_3nopEEEiNS0_5equalEEEPFvvEEEvRKT_PKcSG_SG_iT0_@rel32@lo+4
	s_addc_u32 s61, s61, _ZN8migraphx4test12test_manager6failedINS0_10expressionINS0_14lhs_expressionIRiNS0_3nopEEEiNS0_5equalEEEPFvvEEEvRKT_PKcSG_SG_iT0_@rel32@hi+12
	s_swappc_b64 s[30:31], s[60:61]
	s_add_u32 s4, 0, 4
	s_addc_u32 s5, s59, 0
	v_mov_b32_e32 v0, s4
	v_mov_b32_e32 v1, s5
	s_getpc_b64 s[4:5]
	s_add_u32 s4, s4, .str.16@rel32@lo+4
	s_addc_u32 s5, s5, .str.16@rel32@hi+12
	buffer_store_dword v43, off, s[0:3], 0 offset:24
	v_mov_b32_e32 v31, v42
	buffer_store_dword v0, off, s[0:3], 0 offset:16
	buffer_store_dword v1, off, s[0:3], 0 offset:20
	v_mov_b32_e32 v0, 32
	v_mov_b32_e32 v1, s57
	v_mov_b32_e32 v2, 16
	v_mov_b32_e32 v3, s59
	v_mov_b32_e32 v4, s4
	v_mov_b32_e32 v5, s5
	v_mov_b32_e32 v6, s62
	v_mov_b32_e32 v7, s63
	v_mov_b32_e32 v8, 0x45a
	s_mov_b64 s[8:9], s[50:51]
	s_mov_b32 s12, s54
	s_mov_b32 s13, s53
	s_mov_b32 s14, s52
	s_swappc_b64 s[30:31], s[60:61]
	s_add_u32 s4, 0, 8
	s_addc_u32 s5, s59, 0
	v_mov_b32_e32 v0, s4
	v_mov_b32_e32 v1, s5
	s_getpc_b64 s[4:5]
	s_add_u32 s4, s4, .str.17@rel32@lo+4
	s_addc_u32 s5, s5, .str.17@rel32@hi+12
	buffer_store_dword v44, off, s[0:3], 0 offset:24
	v_mov_b32_e32 v31, v42
	buffer_store_dword v0, off, s[0:3], 0 offset:16
	buffer_store_dword v1, off, s[0:3], 0 offset:20
	v_mov_b32_e32 v0, 32
	v_mov_b32_e32 v1, s57
	v_mov_b32_e32 v2, 16
	v_mov_b32_e32 v3, s59
	v_mov_b32_e32 v4, s4
	v_mov_b32_e32 v5, s5
	v_mov_b32_e32 v6, s62
	v_mov_b32_e32 v7, s63
	v_mov_b32_e32 v8, 0x45b
	s_mov_b64 s[8:9], s[50:51]
	s_mov_b32 s12, s54
	s_mov_b32 s13, s53
	s_mov_b32 s14, s52
	;; [unrolled: 25-line block ×3, first 2 shown]
	s_swappc_b64 s[30:31], s[60:61]
	s_mov_b32 s4, 0
.LBB6_17:
	s_andn2_b32 vcc_lo, exec_lo, s4
	s_cbranch_vccnz .LBB6_19
; %bb.18:
	v_mov_b32_e32 v1, 1
	s_add_u32 s50, s48, 16
	v_mov_b32_e32 v43, 2
	s_addc_u32 s51, s49, 0
	s_mov_b64 s[58:59], src_private_base
	v_mov_b32_e32 v44, 3
	s_getpc_b64 s[4:5]
	s_add_u32 s4, s4, .str.15@rel32@lo+4
	s_addc_u32 s5, s5, .str.15@rel32@hi+12
	v_mov_b32_e32 v45, 4
	s_getpc_b64 s[62:63]
	s_add_u32 s62, s62, __PRETTY_FUNCTION__._ZL19make_array_functionRN8migraphx4test12test_managerE@rel32@lo+4
	s_addc_u32 s63, s63, __PRETTY_FUNCTION__._ZL19make_array_functionRN8migraphx4test12test_managerE@rel32@hi+12
	v_mov_b32_e32 v0, 0
	v_mov_b32_e32 v2, s59
	buffer_store_dword v1, off, s[0:3], 0
	buffer_store_dword v43, off, s[0:3], 0 offset:4
	buffer_store_dword v44, off, s[0:3], 0 offset:8
	;; [unrolled: 1-line block ×6, first 2 shown]
	v_mov_b32_e32 v31, v42
	v_mov_b32_e32 v0, 32
	;; [unrolled: 1-line block ×10, first 2 shown]
	s_mov_b64 s[8:9], s[50:51]
	s_mov_b32 s12, s54
	s_mov_b32 s13, s53
	;; [unrolled: 1-line block ×3, first 2 shown]
	s_getpc_b64 s[60:61]
	s_add_u32 s60, s60, _ZN8migraphx4test12test_manager6failedINS0_10expressionINS0_14lhs_expressionIRiNS0_3nopEEEiNS0_5equalEEEPFvvEEEvRKT_PKcSG_SG_iT0_@rel32@lo+4
	s_addc_u32 s61, s61, _ZN8migraphx4test12test_manager6failedINS0_10expressionINS0_14lhs_expressionIRiNS0_3nopEEEiNS0_5equalEEEPFvvEEEvRKT_PKcSG_SG_iT0_@rel32@hi+12
	s_swappc_b64 s[30:31], s[60:61]
	s_add_u32 s4, 0, 4
	s_addc_u32 s5, s59, 0
	v_mov_b32_e32 v0, s4
	v_mov_b32_e32 v1, s5
	s_getpc_b64 s[4:5]
	s_add_u32 s4, s4, .str.16@rel32@lo+4
	s_addc_u32 s5, s5, .str.16@rel32@hi+12
	buffer_store_dword v43, off, s[0:3], 0 offset:24
	v_mov_b32_e32 v31, v42
	buffer_store_dword v0, off, s[0:3], 0 offset:16
	buffer_store_dword v1, off, s[0:3], 0 offset:20
	v_mov_b32_e32 v0, 32
	v_mov_b32_e32 v1, s57
	v_mov_b32_e32 v2, 16
	v_mov_b32_e32 v3, s59
	v_mov_b32_e32 v4, s4
	v_mov_b32_e32 v5, s5
	v_mov_b32_e32 v6, s62
	v_mov_b32_e32 v7, s63
	v_mov_b32_e32 v8, 0x44e
	s_mov_b64 s[8:9], s[50:51]
	s_mov_b32 s12, s54
	s_mov_b32 s13, s53
	s_mov_b32 s14, s52
	s_swappc_b64 s[30:31], s[60:61]
	s_add_u32 s4, 0, 8
	s_addc_u32 s5, s59, 0
	v_mov_b32_e32 v0, s4
	v_mov_b32_e32 v1, s5
	s_getpc_b64 s[4:5]
	s_add_u32 s4, s4, .str.17@rel32@lo+4
	s_addc_u32 s5, s5, .str.17@rel32@hi+12
	buffer_store_dword v44, off, s[0:3], 0 offset:24
	v_mov_b32_e32 v31, v42
	buffer_store_dword v0, off, s[0:3], 0 offset:16
	buffer_store_dword v1, off, s[0:3], 0 offset:20
	v_mov_b32_e32 v0, 32
	v_mov_b32_e32 v1, s57
	v_mov_b32_e32 v2, 16
	v_mov_b32_e32 v3, s59
	v_mov_b32_e32 v4, s4
	v_mov_b32_e32 v5, s5
	v_mov_b32_e32 v6, s62
	v_mov_b32_e32 v7, s63
	v_mov_b32_e32 v8, 0x44f
	s_mov_b64 s[8:9], s[50:51]
	s_mov_b32 s12, s54
	s_mov_b32 s13, s53
	s_mov_b32 s14, s52
	;; [unrolled: 25-line block ×3, first 2 shown]
	s_swappc_b64 s[30:31], s[60:61]
.LBB6_19:
	s_mov_b32 s5, 0
	s_mov_b32 s4, -1
.LBB6_20:
	s_andn2_b32 vcc_lo, exec_lo, s5
	s_cbranch_vccnz .LBB6_12
; %bb.21:
	s_cmp_eq_u32 s55, 0
	s_mov_b32 s4, -1
	s_cbranch_scc0 .LBB6_12
; %bb.22:
	v_mov_b32_e32 v0, 2
	v_mov_b32_e32 v1, 5
	s_mov_b64 s[58:59], src_private_base
	s_add_u32 s4, 0, 4
	s_addc_u32 s5, s59, 0
	v_mov_b32_e32 v43, 10
	v_mov_b32_e32 v44, 17
	s_add_u32 s50, s48, 16
	buffer_store_dword v0, off, s[0:3], 0
	buffer_store_dword v1, off, s[0:3], 0 offset:4
	v_mov_b32_e32 v0, s5
	s_addc_u32 s51, s49, 0
	v_mov_b32_e32 v2, s4
	s_getpc_b64 s[4:5]
	s_add_u32 s4, s4, .str.2@rel32@lo+4
	s_addc_u32 s5, s5, .str.2@rel32@hi+12
	s_getpc_b64 s[60:61]
	s_add_u32 s60, s60, __PRETTY_FUNCTION__._ZL29array_apply_complex_operationRN8migraphx4test12test_managerE@rel32@lo+4
	s_addc_u32 s61, s61, __PRETTY_FUNCTION__._ZL29array_apply_complex_operationRN8migraphx4test12test_managerE@rel32@hi+12
	buffer_store_dword v43, off, s[0:3], 0 offset:8
	buffer_store_dword v44, off, s[0:3], 0 offset:12
	;; [unrolled: 1-line block ×5, first 2 shown]
	v_mov_b32_e32 v31, v42
	v_mov_b32_e32 v0, 32
	;; [unrolled: 1-line block ×10, first 2 shown]
	s_mov_b64 s[8:9], s[50:51]
	s_mov_b32 s12, s54
	s_mov_b32 s13, s53
	;; [unrolled: 1-line block ×3, first 2 shown]
	v_add_nc_u32_e64 v45, 0, 12
	s_getpc_b64 s[62:63]
	s_add_u32 s62, s62, _ZN8migraphx4test12test_manager6failedINS0_10expressionINS0_14lhs_expressionIRiNS0_3nopEEEiNS0_5equalEEEPFvvEEEvRKT_PKcSG_SG_iT0_@rel32@lo+4
	s_addc_u32 s63, s63, _ZN8migraphx4test12test_manager6failedINS0_10expressionINS0_14lhs_expressionIRiNS0_3nopEEEiNS0_5equalEEEPFvvEEEvRKT_PKcSG_SG_iT0_@rel32@hi+12
	s_swappc_b64 s[30:31], s[62:63]
	s_add_u32 s4, 0, 8
	s_addc_u32 s5, s59, 0
	v_mov_b32_e32 v0, s4
	v_mov_b32_e32 v1, s5
	s_getpc_b64 s[4:5]
	s_add_u32 s4, s4, .str.3@rel32@lo+4
	s_addc_u32 s5, s5, .str.3@rel32@hi+12
	buffer_store_dword v43, off, s[0:3], 0 offset:24
	v_mov_b32_e32 v31, v42
	buffer_store_dword v0, off, s[0:3], 0 offset:16
	buffer_store_dword v1, off, s[0:3], 0 offset:20
	v_mov_b32_e32 v0, 32
	v_mov_b32_e32 v1, s57
	;; [unrolled: 1-line block ×9, first 2 shown]
	s_mov_b64 s[8:9], s[50:51]
	s_mov_b32 s12, s54
	s_mov_b32 s13, s53
	;; [unrolled: 1-line block ×3, first 2 shown]
	s_swappc_b64 s[30:31], s[62:63]
	buffer_load_dword v0, off, s[0:3], 0 offset:12
	v_mov_b32_e32 v1, s59
	s_mov_b32 s4, exec_lo
	buffer_store_dword v1, off, s[0:3], 0 offset:20
	buffer_store_dword v45, off, s[0:3], 0 offset:16
	;; [unrolled: 1-line block ×3, first 2 shown]
	s_waitcnt vmcnt(0)
	v_cmpx_ne_u32_e32 17, v0
	s_xor_b32 s40, exec_lo, s4
	s_cbranch_execz .LBB6_1712
; %bb.23:
	s_mov_b32 s41, exec_lo
	v_cmpx_eq_u32_e32 0, v42
	s_cbranch_execz .LBB6_1711
; %bb.24:
	s_load_dwordx2 s[38:39], s[48:49], 0x60
	v_mbcnt_lo_u32_b32 v42, -1, 0
	v_mov_b32_e32 v6, 0
	v_mov_b32_e32 v7, 0
	v_readfirstlane_b32 s4, v42
	v_cmp_eq_u32_e64 s4, s4, v42
	s_and_saveexec_b32 s5, s4
	s_cbranch_execz .LBB6_30
; %bb.25:
	v_mov_b32_e32 v0, 0
	s_mov_b32 s6, exec_lo
	s_waitcnt lgkmcnt(0)
	global_load_dwordx2 v[3:4], v0, s[38:39] offset:24 glc dlc
	s_waitcnt vmcnt(0)
	buffer_gl1_inv
	buffer_gl0_inv
	s_clause 0x1
	global_load_dwordx2 v[1:2], v0, s[38:39] offset:40
	global_load_dwordx2 v[5:6], v0, s[38:39]
	s_waitcnt vmcnt(1)
	v_and_b32_e32 v2, v2, v4
	v_and_b32_e32 v1, v1, v3
	v_mul_lo_u32 v2, v2, 24
	v_mul_hi_u32 v7, v1, 24
	v_mul_lo_u32 v1, v1, 24
	v_add_nc_u32_e32 v2, v7, v2
	s_waitcnt vmcnt(0)
	v_add_co_u32 v1, vcc_lo, v5, v1
	v_add_co_ci_u32_e32 v2, vcc_lo, v6, v2, vcc_lo
	global_load_dwordx2 v[1:2], v[1:2], off glc dlc
	s_waitcnt vmcnt(0)
	global_atomic_cmpswap_x2 v[6:7], v0, v[1:4], s[38:39] offset:24 glc
	s_waitcnt vmcnt(0)
	buffer_gl1_inv
	buffer_gl0_inv
	v_cmpx_ne_u64_e64 v[6:7], v[3:4]
	s_cbranch_execz .LBB6_29
; %bb.26:
	s_mov_b32 s7, 0
.LBB6_27:                               ; =>This Inner Loop Header: Depth=1
	s_sleep 1
	s_clause 0x1
	global_load_dwordx2 v[1:2], v0, s[38:39] offset:40
	global_load_dwordx2 v[8:9], v0, s[38:39]
	v_mov_b32_e32 v3, v6
	v_mov_b32_e32 v4, v7
	s_waitcnt vmcnt(1)
	v_and_b32_e32 v1, v1, v3
	v_and_b32_e32 v2, v2, v4
	s_waitcnt vmcnt(0)
	v_mad_u64_u32 v[5:6], null, v1, 24, v[8:9]
	v_mov_b32_e32 v1, v6
	v_mad_u64_u32 v[1:2], null, v2, 24, v[1:2]
	v_mov_b32_e32 v6, v1
	global_load_dwordx2 v[1:2], v[5:6], off glc dlc
	s_waitcnt vmcnt(0)
	global_atomic_cmpswap_x2 v[6:7], v0, v[1:4], s[38:39] offset:24 glc
	s_waitcnt vmcnt(0)
	buffer_gl1_inv
	buffer_gl0_inv
	v_cmp_eq_u64_e32 vcc_lo, v[6:7], v[3:4]
	s_or_b32 s7, vcc_lo, s7
	s_andn2_b32 exec_lo, exec_lo, s7
	s_cbranch_execnz .LBB6_27
; %bb.28:
	s_or_b32 exec_lo, exec_lo, s7
.LBB6_29:
	s_or_b32 exec_lo, exec_lo, s6
.LBB6_30:
	s_or_b32 exec_lo, exec_lo, s5
	v_mov_b32_e32 v5, 0
	v_readfirstlane_b32 s6, v6
	v_readfirstlane_b32 s7, v7
	s_mov_b32 s5, exec_lo
	s_waitcnt lgkmcnt(0)
	s_clause 0x1
	global_load_dwordx2 v[8:9], v5, s[38:39] offset:40
	global_load_dwordx4 v[0:3], v5, s[38:39]
	s_waitcnt vmcnt(1)
	v_readfirstlane_b32 s8, v8
	v_readfirstlane_b32 s9, v9
	s_and_b64 s[8:9], s[6:7], s[8:9]
	s_mul_i32 s10, s9, 24
	s_mul_hi_u32 s11, s8, 24
	s_mul_i32 s12, s8, 24
	s_add_i32 s11, s11, s10
	s_waitcnt vmcnt(0)
	v_add_co_u32 v8, vcc_lo, v0, s12
	v_add_co_ci_u32_e32 v9, vcc_lo, s11, v1, vcc_lo
	s_and_saveexec_b32 s10, s4
	s_cbranch_execz .LBB6_32
; %bb.31:
	v_mov_b32_e32 v4, s5
	v_mov_b32_e32 v6, 2
	v_mov_b32_e32 v7, 1
	global_store_dwordx4 v[8:9], v[4:7], off offset:8
.LBB6_32:
	s_or_b32 exec_lo, exec_lo, s10
	s_lshl_b64 s[8:9], s[8:9], 12
	v_lshlrev_b32_e32 v41, 6, v42
	v_add_co_u32 v2, vcc_lo, v2, s8
	v_add_co_ci_u32_e32 v3, vcc_lo, s9, v3, vcc_lo
	s_mov_b32 s8, 0
	v_add_co_u32 v10, vcc_lo, v2, v41
	s_mov_b32 s11, s8
	s_mov_b32 s9, s8
	;; [unrolled: 1-line block ×3, first 2 shown]
	v_mov_b32_e32 v4, 33
	v_mov_b32_e32 v6, v5
	;; [unrolled: 1-line block ×3, first 2 shown]
	v_readfirstlane_b32 s12, v2
	v_readfirstlane_b32 s13, v3
	v_mov_b32_e32 v15, s11
	v_add_co_ci_u32_e32 v11, vcc_lo, 0, v3, vcc_lo
	v_mov_b32_e32 v14, s10
	v_mov_b32_e32 v13, s9
	;; [unrolled: 1-line block ×3, first 2 shown]
	global_store_dwordx4 v41, v[4:7], s[12:13]
	global_store_dwordx4 v41, v[12:15], s[12:13] offset:16
	global_store_dwordx4 v41, v[12:15], s[12:13] offset:32
	;; [unrolled: 1-line block ×3, first 2 shown]
	s_and_saveexec_b32 s5, s4
	s_cbranch_execz .LBB6_40
; %bb.33:
	v_mov_b32_e32 v6, 0
	v_mov_b32_e32 v12, s6
	;; [unrolled: 1-line block ×3, first 2 shown]
	s_mov_b32 s8, exec_lo
	s_clause 0x1
	global_load_dwordx2 v[14:15], v6, s[38:39] offset:32 glc dlc
	global_load_dwordx2 v[2:3], v6, s[38:39] offset:40
	s_waitcnt vmcnt(0)
	v_and_b32_e32 v3, s7, v3
	v_and_b32_e32 v2, s6, v2
	v_mul_lo_u32 v3, v3, 24
	v_mul_hi_u32 v4, v2, 24
	v_mul_lo_u32 v2, v2, 24
	v_add_nc_u32_e32 v3, v4, v3
	v_add_co_u32 v4, vcc_lo, v0, v2
	v_add_co_ci_u32_e32 v5, vcc_lo, v1, v3, vcc_lo
	global_store_dwordx2 v[4:5], v[14:15], off
	s_waitcnt_vscnt null, 0x0
	global_atomic_cmpswap_x2 v[2:3], v6, v[12:15], s[38:39] offset:32 glc
	s_waitcnt vmcnt(0)
	v_cmpx_ne_u64_e64 v[2:3], v[14:15]
	s_cbranch_execz .LBB6_36
; %bb.34:
	s_mov_b32 s9, 0
.LBB6_35:                               ; =>This Inner Loop Header: Depth=1
	v_mov_b32_e32 v0, s6
	v_mov_b32_e32 v1, s7
	s_sleep 1
	global_store_dwordx2 v[4:5], v[2:3], off
	s_waitcnt_vscnt null, 0x0
	global_atomic_cmpswap_x2 v[0:1], v6, v[0:3], s[38:39] offset:32 glc
	s_waitcnt vmcnt(0)
	v_cmp_eq_u64_e32 vcc_lo, v[0:1], v[2:3]
	v_mov_b32_e32 v3, v1
	v_mov_b32_e32 v2, v0
	s_or_b32 s9, vcc_lo, s9
	s_andn2_b32 exec_lo, exec_lo, s9
	s_cbranch_execnz .LBB6_35
.LBB6_36:
	s_or_b32 exec_lo, exec_lo, s8
	v_mov_b32_e32 v3, 0
	s_mov_b32 s9, exec_lo
	s_mov_b32 s8, exec_lo
	v_mbcnt_lo_u32_b32 v2, s9, 0
	global_load_dwordx2 v[0:1], v3, s[38:39] offset:16
	v_cmpx_eq_u32_e32 0, v2
	s_cbranch_execz .LBB6_38
; %bb.37:
	s_bcnt1_i32_b32 s9, s9
	v_mov_b32_e32 v2, s9
	s_waitcnt vmcnt(0)
	global_atomic_add_x2 v[0:1], v[2:3], off offset:8
.LBB6_38:
	s_or_b32 exec_lo, exec_lo, s8
	s_waitcnt vmcnt(0)
	global_load_dwordx2 v[2:3], v[0:1], off offset:16
	s_waitcnt vmcnt(0)
	v_cmp_eq_u64_e32 vcc_lo, 0, v[2:3]
	s_cbranch_vccnz .LBB6_40
; %bb.39:
	global_load_dword v0, v[0:1], off offset:24
	v_mov_b32_e32 v1, 0
	s_waitcnt vmcnt(0)
	v_and_b32_e32 v4, 0x7fffff, v0
	s_waitcnt_vscnt null, 0x0
	global_store_dwordx2 v[2:3], v[0:1], off
	v_readfirstlane_b32 m0, v4
	s_sendmsg sendmsg(MSG_INTERRUPT)
.LBB6_40:
	s_or_b32 exec_lo, exec_lo, s5
	s_branch .LBB6_44
	.p2align	6
.LBB6_41:                               ;   in Loop: Header=BB6_44 Depth=1
	s_or_b32 exec_lo, exec_lo, s5
	v_readfirstlane_b32 s5, v0
	s_cmp_eq_u32 s5, 0
	s_cbranch_scc1 .LBB6_43
; %bb.42:                               ;   in Loop: Header=BB6_44 Depth=1
	s_sleep 1
	s_cbranch_execnz .LBB6_44
	s_branch .LBB6_46
	.p2align	6
.LBB6_43:
	s_branch .LBB6_46
.LBB6_44:                               ; =>This Inner Loop Header: Depth=1
	v_mov_b32_e32 v0, 1
	s_and_saveexec_b32 s5, s4
	s_cbranch_execz .LBB6_41
; %bb.45:                               ;   in Loop: Header=BB6_44 Depth=1
	global_load_dword v0, v[8:9], off offset:20 glc dlc
	s_waitcnt vmcnt(0)
	buffer_gl1_inv
	buffer_gl0_inv
	v_and_b32_e32 v0, 1, v0
	s_branch .LBB6_41
.LBB6_46:
	global_load_dwordx2 v[4:5], v[10:11], off
	s_and_saveexec_b32 s5, s4
	s_cbranch_execz .LBB6_50
; %bb.47:
	v_mov_b32_e32 v8, 0
	s_clause 0x2
	global_load_dwordx2 v[2:3], v8, s[38:39] offset:40
	global_load_dwordx2 v[9:10], v8, s[38:39] offset:24 glc dlc
	global_load_dwordx2 v[6:7], v8, s[38:39]
	s_waitcnt vmcnt(2)
	v_add_co_u32 v11, vcc_lo, v2, 1
	v_add_co_ci_u32_e32 v12, vcc_lo, 0, v3, vcc_lo
	v_add_co_u32 v0, vcc_lo, v11, s6
	v_add_co_ci_u32_e32 v1, vcc_lo, s7, v12, vcc_lo
	v_cmp_eq_u64_e32 vcc_lo, 0, v[0:1]
	v_cndmask_b32_e32 v1, v1, v12, vcc_lo
	v_cndmask_b32_e32 v0, v0, v11, vcc_lo
	v_and_b32_e32 v3, v1, v3
	v_and_b32_e32 v2, v0, v2
	v_mul_lo_u32 v3, v3, 24
	v_mul_hi_u32 v11, v2, 24
	v_mul_lo_u32 v2, v2, 24
	v_add_nc_u32_e32 v3, v11, v3
	s_waitcnt vmcnt(0)
	v_add_co_u32 v6, vcc_lo, v6, v2
	v_mov_b32_e32 v2, v9
	v_add_co_ci_u32_e32 v7, vcc_lo, v7, v3, vcc_lo
	v_mov_b32_e32 v3, v10
	global_store_dwordx2 v[6:7], v[9:10], off
	s_waitcnt_vscnt null, 0x0
	global_atomic_cmpswap_x2 v[2:3], v8, v[0:3], s[38:39] offset:24 glc
	s_waitcnt vmcnt(0)
	v_cmp_ne_u64_e32 vcc_lo, v[2:3], v[9:10]
	s_and_b32 exec_lo, exec_lo, vcc_lo
	s_cbranch_execz .LBB6_50
; %bb.48:
	s_mov_b32 s4, 0
.LBB6_49:                               ; =>This Inner Loop Header: Depth=1
	s_sleep 1
	global_store_dwordx2 v[6:7], v[2:3], off
	s_waitcnt_vscnt null, 0x0
	global_atomic_cmpswap_x2 v[9:10], v8, v[0:3], s[38:39] offset:24 glc
	s_waitcnt vmcnt(0)
	v_cmp_eq_u64_e32 vcc_lo, v[9:10], v[2:3]
	v_mov_b32_e32 v2, v9
	v_mov_b32_e32 v3, v10
	s_or_b32 s4, vcc_lo, s4
	s_andn2_b32 exec_lo, exec_lo, s4
	s_cbranch_execnz .LBB6_49
.LBB6_50:
	s_or_b32 exec_lo, exec_lo, s5
	s_getpc_b64 s[6:7]
	s_add_u32 s6, s6, .str.8@rel32@lo+4
	s_addc_u32 s7, s7, .str.8@rel32@hi+12
	s_cmp_lg_u64 s[6:7], 0
	s_cselect_b32 s16, -1, 0
	s_and_b32 vcc_lo, exec_lo, s16
	s_cbranch_vccz .LBB6_129
; %bb.51:
	s_waitcnt vmcnt(0)
	v_and_b32_e32 v28, 2, v4
	v_mov_b32_e32 v7, 0
	v_and_b32_e32 v0, -3, v4
	v_mov_b32_e32 v1, v5
	v_mov_b32_e32 v8, 2
	;; [unrolled: 1-line block ×3, first 2 shown]
	s_mov_b64 s[8:9], 3
	s_branch .LBB6_53
.LBB6_52:                               ;   in Loop: Header=BB6_53 Depth=1
	s_or_b32 exec_lo, exec_lo, s5
	s_sub_u32 s8, s8, s10
	s_subb_u32 s9, s9, s11
	s_add_u32 s6, s6, s10
	s_addc_u32 s7, s7, s11
	s_cmp_lg_u64 s[8:9], 0
	s_cbranch_scc0 .LBB6_128
.LBB6_53:                               ; =>This Loop Header: Depth=1
                                        ;     Child Loop BB6_62 Depth 2
                                        ;     Child Loop BB6_58 Depth 2
	;; [unrolled: 1-line block ×11, first 2 shown]
	v_cmp_lt_u64_e64 s4, s[8:9], 56
	v_cmp_gt_u64_e64 s5, s[8:9], 7
                                        ; implicit-def: $vgpr2_vgpr3
                                        ; implicit-def: $sgpr17
	s_and_b32 s4, s4, exec_lo
	s_cselect_b32 s11, s9, 0
	s_cselect_b32 s10, s8, 56
	s_and_b32 vcc_lo, exec_lo, s5
	s_mov_b32 s4, -1
	s_cbranch_vccz .LBB6_60
; %bb.54:                               ;   in Loop: Header=BB6_53 Depth=1
	s_andn2_b32 vcc_lo, exec_lo, s4
	s_mov_b64 s[4:5], s[6:7]
	s_cbranch_vccz .LBB6_64
.LBB6_55:                               ;   in Loop: Header=BB6_53 Depth=1
	s_cmp_gt_u32 s17, 7
	s_cbranch_scc1 .LBB6_65
.LBB6_56:                               ;   in Loop: Header=BB6_53 Depth=1
	v_mov_b32_e32 v10, 0
	v_mov_b32_e32 v11, 0
	s_cmp_eq_u32 s17, 0
	s_cbranch_scc1 .LBB6_59
; %bb.57:                               ;   in Loop: Header=BB6_53 Depth=1
	s_mov_b64 s[12:13], 0
	s_mov_b64 s[14:15], 0
.LBB6_58:                               ;   Parent Loop BB6_53 Depth=1
                                        ; =>  This Inner Loop Header: Depth=2
	s_add_u32 s18, s4, s14
	s_addc_u32 s19, s5, s15
	s_add_u32 s14, s14, 1
	global_load_ubyte v6, v7, s[18:19]
	s_addc_u32 s15, s15, 0
	s_waitcnt vmcnt(0)
	v_and_b32_e32 v6, 0xffff, v6
	v_lshlrev_b64 v[12:13], s12, v[6:7]
	s_add_u32 s12, s12, 8
	s_addc_u32 s13, s13, 0
	s_cmp_lg_u32 s17, s14
	v_or_b32_e32 v10, v12, v10
	v_or_b32_e32 v11, v13, v11
	s_cbranch_scc1 .LBB6_58
.LBB6_59:                               ;   in Loop: Header=BB6_53 Depth=1
	s_mov_b32 s18, 0
	s_cbranch_execz .LBB6_66
	s_branch .LBB6_67
.LBB6_60:                               ;   in Loop: Header=BB6_53 Depth=1
	s_waitcnt vmcnt(0)
	v_mov_b32_e32 v2, 0
	v_mov_b32_e32 v3, 0
	s_cmp_eq_u64 s[8:9], 0
	s_mov_b64 s[4:5], 0
	s_cbranch_scc1 .LBB6_63
; %bb.61:                               ;   in Loop: Header=BB6_53 Depth=1
	v_mov_b32_e32 v2, 0
	v_mov_b32_e32 v3, 0
	s_lshl_b64 s[12:13], s[10:11], 3
	s_mov_b64 s[14:15], s[6:7]
.LBB6_62:                               ;   Parent Loop BB6_53 Depth=1
                                        ; =>  This Inner Loop Header: Depth=2
	global_load_ubyte v6, v7, s[14:15]
	s_waitcnt vmcnt(0)
	v_and_b32_e32 v6, 0xffff, v6
	v_lshlrev_b64 v[10:11], s4, v[6:7]
	s_add_u32 s4, s4, 8
	s_addc_u32 s5, s5, 0
	s_add_u32 s14, s14, 1
	s_addc_u32 s15, s15, 0
	s_cmp_lg_u32 s12, s4
	v_or_b32_e32 v2, v10, v2
	v_or_b32_e32 v3, v11, v3
	s_cbranch_scc1 .LBB6_62
.LBB6_63:                               ;   in Loop: Header=BB6_53 Depth=1
	s_mov_b32 s17, 0
	s_mov_b64 s[4:5], s[6:7]
	s_cbranch_execnz .LBB6_55
.LBB6_64:                               ;   in Loop: Header=BB6_53 Depth=1
	global_load_dwordx2 v[2:3], v7, s[6:7]
	s_add_i32 s17, s10, -8
	s_add_u32 s4, s6, 8
	s_addc_u32 s5, s7, 0
	s_cmp_gt_u32 s17, 7
	s_cbranch_scc0 .LBB6_56
.LBB6_65:                               ;   in Loop: Header=BB6_53 Depth=1
                                        ; implicit-def: $vgpr10_vgpr11
                                        ; implicit-def: $sgpr18
.LBB6_66:                               ;   in Loop: Header=BB6_53 Depth=1
	global_load_dwordx2 v[10:11], v7, s[4:5]
	s_add_i32 s18, s17, -8
	s_add_u32 s4, s4, 8
	s_addc_u32 s5, s5, 0
.LBB6_67:                               ;   in Loop: Header=BB6_53 Depth=1
	s_cmp_gt_u32 s18, 7
	s_cbranch_scc1 .LBB6_72
; %bb.68:                               ;   in Loop: Header=BB6_53 Depth=1
	v_mov_b32_e32 v12, 0
	v_mov_b32_e32 v13, 0
	s_cmp_eq_u32 s18, 0
	s_cbranch_scc1 .LBB6_71
; %bb.69:                               ;   in Loop: Header=BB6_53 Depth=1
	s_mov_b64 s[12:13], 0
	s_mov_b64 s[14:15], 0
.LBB6_70:                               ;   Parent Loop BB6_53 Depth=1
                                        ; =>  This Inner Loop Header: Depth=2
	s_add_u32 s20, s4, s14
	s_addc_u32 s21, s5, s15
	s_add_u32 s14, s14, 1
	global_load_ubyte v6, v7, s[20:21]
	s_addc_u32 s15, s15, 0
	s_waitcnt vmcnt(0)
	v_and_b32_e32 v6, 0xffff, v6
	v_lshlrev_b64 v[14:15], s12, v[6:7]
	s_add_u32 s12, s12, 8
	s_addc_u32 s13, s13, 0
	s_cmp_lg_u32 s18, s14
	v_or_b32_e32 v12, v14, v12
	v_or_b32_e32 v13, v15, v13
	s_cbranch_scc1 .LBB6_70
.LBB6_71:                               ;   in Loop: Header=BB6_53 Depth=1
	s_mov_b32 s17, 0
	s_cbranch_execz .LBB6_73
	s_branch .LBB6_74
.LBB6_72:                               ;   in Loop: Header=BB6_53 Depth=1
                                        ; implicit-def: $sgpr17
.LBB6_73:                               ;   in Loop: Header=BB6_53 Depth=1
	global_load_dwordx2 v[12:13], v7, s[4:5]
	s_add_i32 s17, s18, -8
	s_add_u32 s4, s4, 8
	s_addc_u32 s5, s5, 0
.LBB6_74:                               ;   in Loop: Header=BB6_53 Depth=1
	s_cmp_gt_u32 s17, 7
	s_cbranch_scc1 .LBB6_79
; %bb.75:                               ;   in Loop: Header=BB6_53 Depth=1
	v_mov_b32_e32 v14, 0
	v_mov_b32_e32 v15, 0
	s_cmp_eq_u32 s17, 0
	s_cbranch_scc1 .LBB6_78
; %bb.76:                               ;   in Loop: Header=BB6_53 Depth=1
	s_mov_b64 s[12:13], 0
	s_mov_b64 s[14:15], 0
.LBB6_77:                               ;   Parent Loop BB6_53 Depth=1
                                        ; =>  This Inner Loop Header: Depth=2
	s_add_u32 s18, s4, s14
	s_addc_u32 s19, s5, s15
	s_add_u32 s14, s14, 1
	global_load_ubyte v6, v7, s[18:19]
	s_addc_u32 s15, s15, 0
	s_waitcnt vmcnt(0)
	v_and_b32_e32 v6, 0xffff, v6
	v_lshlrev_b64 v[16:17], s12, v[6:7]
	s_add_u32 s12, s12, 8
	s_addc_u32 s13, s13, 0
	s_cmp_lg_u32 s17, s14
	v_or_b32_e32 v14, v16, v14
	v_or_b32_e32 v15, v17, v15
	s_cbranch_scc1 .LBB6_77
.LBB6_78:                               ;   in Loop: Header=BB6_53 Depth=1
	s_mov_b32 s18, 0
	s_cbranch_execz .LBB6_80
	s_branch .LBB6_81
.LBB6_79:                               ;   in Loop: Header=BB6_53 Depth=1
                                        ; implicit-def: $vgpr14_vgpr15
                                        ; implicit-def: $sgpr18
.LBB6_80:                               ;   in Loop: Header=BB6_53 Depth=1
	global_load_dwordx2 v[14:15], v7, s[4:5]
	s_add_i32 s18, s17, -8
	s_add_u32 s4, s4, 8
	s_addc_u32 s5, s5, 0
.LBB6_81:                               ;   in Loop: Header=BB6_53 Depth=1
	s_cmp_gt_u32 s18, 7
	s_cbranch_scc1 .LBB6_86
; %bb.82:                               ;   in Loop: Header=BB6_53 Depth=1
	v_mov_b32_e32 v16, 0
	v_mov_b32_e32 v17, 0
	s_cmp_eq_u32 s18, 0
	s_cbranch_scc1 .LBB6_85
; %bb.83:                               ;   in Loop: Header=BB6_53 Depth=1
	s_mov_b64 s[12:13], 0
	s_mov_b64 s[14:15], 0
.LBB6_84:                               ;   Parent Loop BB6_53 Depth=1
                                        ; =>  This Inner Loop Header: Depth=2
	s_add_u32 s20, s4, s14
	s_addc_u32 s21, s5, s15
	s_add_u32 s14, s14, 1
	global_load_ubyte v6, v7, s[20:21]
	s_addc_u32 s15, s15, 0
	s_waitcnt vmcnt(0)
	v_and_b32_e32 v6, 0xffff, v6
	v_lshlrev_b64 v[18:19], s12, v[6:7]
	s_add_u32 s12, s12, 8
	s_addc_u32 s13, s13, 0
	s_cmp_lg_u32 s18, s14
	v_or_b32_e32 v16, v18, v16
	v_or_b32_e32 v17, v19, v17
	s_cbranch_scc1 .LBB6_84
.LBB6_85:                               ;   in Loop: Header=BB6_53 Depth=1
	s_mov_b32 s17, 0
	s_cbranch_execz .LBB6_87
	s_branch .LBB6_88
.LBB6_86:                               ;   in Loop: Header=BB6_53 Depth=1
                                        ; implicit-def: $sgpr17
.LBB6_87:                               ;   in Loop: Header=BB6_53 Depth=1
	global_load_dwordx2 v[16:17], v7, s[4:5]
	s_add_i32 s17, s18, -8
	s_add_u32 s4, s4, 8
	s_addc_u32 s5, s5, 0
.LBB6_88:                               ;   in Loop: Header=BB6_53 Depth=1
	s_cmp_gt_u32 s17, 7
	s_cbranch_scc1 .LBB6_93
; %bb.89:                               ;   in Loop: Header=BB6_53 Depth=1
	v_mov_b32_e32 v18, 0
	v_mov_b32_e32 v19, 0
	s_cmp_eq_u32 s17, 0
	s_cbranch_scc1 .LBB6_92
; %bb.90:                               ;   in Loop: Header=BB6_53 Depth=1
	s_mov_b64 s[12:13], 0
	s_mov_b64 s[14:15], 0
.LBB6_91:                               ;   Parent Loop BB6_53 Depth=1
                                        ; =>  This Inner Loop Header: Depth=2
	s_add_u32 s18, s4, s14
	s_addc_u32 s19, s5, s15
	s_add_u32 s14, s14, 1
	global_load_ubyte v6, v7, s[18:19]
	s_addc_u32 s15, s15, 0
	s_waitcnt vmcnt(0)
	v_and_b32_e32 v6, 0xffff, v6
	v_lshlrev_b64 v[20:21], s12, v[6:7]
	s_add_u32 s12, s12, 8
	s_addc_u32 s13, s13, 0
	s_cmp_lg_u32 s17, s14
	v_or_b32_e32 v18, v20, v18
	v_or_b32_e32 v19, v21, v19
	s_cbranch_scc1 .LBB6_91
.LBB6_92:                               ;   in Loop: Header=BB6_53 Depth=1
	s_mov_b32 s18, 0
	s_cbranch_execz .LBB6_94
	s_branch .LBB6_95
.LBB6_93:                               ;   in Loop: Header=BB6_53 Depth=1
                                        ; implicit-def: $vgpr18_vgpr19
                                        ; implicit-def: $sgpr18
.LBB6_94:                               ;   in Loop: Header=BB6_53 Depth=1
	global_load_dwordx2 v[18:19], v7, s[4:5]
	s_add_i32 s18, s17, -8
	s_add_u32 s4, s4, 8
	s_addc_u32 s5, s5, 0
.LBB6_95:                               ;   in Loop: Header=BB6_53 Depth=1
	s_cmp_gt_u32 s18, 7
	s_cbranch_scc1 .LBB6_100
; %bb.96:                               ;   in Loop: Header=BB6_53 Depth=1
	v_mov_b32_e32 v20, 0
	v_mov_b32_e32 v21, 0
	s_cmp_eq_u32 s18, 0
	s_cbranch_scc1 .LBB6_99
; %bb.97:                               ;   in Loop: Header=BB6_53 Depth=1
	s_mov_b64 s[12:13], 0
	s_mov_b64 s[14:15], s[4:5]
.LBB6_98:                               ;   Parent Loop BB6_53 Depth=1
                                        ; =>  This Inner Loop Header: Depth=2
	global_load_ubyte v6, v7, s[14:15]
	s_add_i32 s18, s18, -1
	s_waitcnt vmcnt(0)
	v_and_b32_e32 v6, 0xffff, v6
	v_lshlrev_b64 v[22:23], s12, v[6:7]
	s_add_u32 s12, s12, 8
	s_addc_u32 s13, s13, 0
	s_add_u32 s14, s14, 1
	s_addc_u32 s15, s15, 0
	s_cmp_lg_u32 s18, 0
	v_or_b32_e32 v20, v22, v20
	v_or_b32_e32 v21, v23, v21
	s_cbranch_scc1 .LBB6_98
.LBB6_99:                               ;   in Loop: Header=BB6_53 Depth=1
	s_cbranch_execz .LBB6_101
	s_branch .LBB6_102
.LBB6_100:                              ;   in Loop: Header=BB6_53 Depth=1
.LBB6_101:                              ;   in Loop: Header=BB6_53 Depth=1
	global_load_dwordx2 v[20:21], v7, s[4:5]
.LBB6_102:                              ;   in Loop: Header=BB6_53 Depth=1
	v_readfirstlane_b32 s4, v42
	v_mov_b32_e32 v26, 0
	v_mov_b32_e32 v27, 0
	v_cmp_eq_u32_e64 s4, s4, v42
	s_and_saveexec_b32 s5, s4
	s_cbranch_execz .LBB6_108
; %bb.103:                              ;   in Loop: Header=BB6_53 Depth=1
	global_load_dwordx2 v[24:25], v7, s[38:39] offset:24 glc dlc
	s_waitcnt vmcnt(0)
	buffer_gl1_inv
	buffer_gl0_inv
	s_clause 0x1
	global_load_dwordx2 v[22:23], v7, s[38:39] offset:40
	global_load_dwordx2 v[26:27], v7, s[38:39]
	s_mov_b32 s12, exec_lo
	s_waitcnt vmcnt(1)
	v_and_b32_e32 v6, v23, v25
	v_and_b32_e32 v22, v22, v24
	v_mul_lo_u32 v6, v6, 24
	v_mul_hi_u32 v23, v22, 24
	v_mul_lo_u32 v22, v22, 24
	v_add_nc_u32_e32 v6, v23, v6
	s_waitcnt vmcnt(0)
	v_add_co_u32 v22, vcc_lo, v26, v22
	v_add_co_ci_u32_e32 v23, vcc_lo, v27, v6, vcc_lo
	global_load_dwordx2 v[22:23], v[22:23], off glc dlc
	s_waitcnt vmcnt(0)
	global_atomic_cmpswap_x2 v[26:27], v7, v[22:25], s[38:39] offset:24 glc
	s_waitcnt vmcnt(0)
	buffer_gl1_inv
	buffer_gl0_inv
	v_cmpx_ne_u64_e64 v[26:27], v[24:25]
	s_cbranch_execz .LBB6_107
; %bb.104:                              ;   in Loop: Header=BB6_53 Depth=1
	s_mov_b32 s13, 0
	.p2align	6
.LBB6_105:                              ;   Parent Loop BB6_53 Depth=1
                                        ; =>  This Inner Loop Header: Depth=2
	s_sleep 1
	s_clause 0x1
	global_load_dwordx2 v[22:23], v7, s[38:39] offset:40
	global_load_dwordx2 v[29:30], v7, s[38:39]
	v_mov_b32_e32 v24, v26
	v_mov_b32_e32 v25, v27
	s_waitcnt vmcnt(1)
	v_and_b32_e32 v6, v22, v24
	v_and_b32_e32 v22, v23, v25
	s_waitcnt vmcnt(0)
	v_mad_u64_u32 v[26:27], null, v6, 24, v[29:30]
	v_mov_b32_e32 v6, v27
	v_mad_u64_u32 v[22:23], null, v22, 24, v[6:7]
	v_mov_b32_e32 v27, v22
	global_load_dwordx2 v[22:23], v[26:27], off glc dlc
	s_waitcnt vmcnt(0)
	global_atomic_cmpswap_x2 v[26:27], v7, v[22:25], s[38:39] offset:24 glc
	s_waitcnt vmcnt(0)
	buffer_gl1_inv
	buffer_gl0_inv
	v_cmp_eq_u64_e32 vcc_lo, v[26:27], v[24:25]
	s_or_b32 s13, vcc_lo, s13
	s_andn2_b32 exec_lo, exec_lo, s13
	s_cbranch_execnz .LBB6_105
; %bb.106:                              ;   in Loop: Header=BB6_53 Depth=1
	s_or_b32 exec_lo, exec_lo, s13
.LBB6_107:                              ;   in Loop: Header=BB6_53 Depth=1
	s_or_b32 exec_lo, exec_lo, s12
.LBB6_108:                              ;   in Loop: Header=BB6_53 Depth=1
	s_or_b32 exec_lo, exec_lo, s5
	s_clause 0x1
	global_load_dwordx2 v[29:30], v7, s[38:39] offset:40
	global_load_dwordx4 v[22:25], v7, s[38:39]
	v_readfirstlane_b32 s12, v26
	v_readfirstlane_b32 s13, v27
	s_mov_b32 s5, exec_lo
	s_waitcnt vmcnt(1)
	v_readfirstlane_b32 s14, v29
	v_readfirstlane_b32 s15, v30
	s_and_b64 s[14:15], s[12:13], s[14:15]
	s_mul_i32 s17, s15, 24
	s_mul_hi_u32 s18, s14, 24
	s_mul_i32 s19, s14, 24
	s_add_i32 s18, s18, s17
	s_waitcnt vmcnt(0)
	v_add_co_u32 v26, vcc_lo, v22, s19
	v_add_co_ci_u32_e32 v27, vcc_lo, s18, v23, vcc_lo
	s_and_saveexec_b32 s17, s4
	s_cbranch_execz .LBB6_110
; %bb.109:                              ;   in Loop: Header=BB6_53 Depth=1
	v_mov_b32_e32 v6, s5
	global_store_dwordx4 v[26:27], v[6:9], off offset:8
.LBB6_110:                              ;   in Loop: Header=BB6_53 Depth=1
	s_or_b32 exec_lo, exec_lo, s17
	s_lshl_b64 s[14:15], s[14:15], 12
	v_cmp_gt_u64_e64 vcc_lo, s[8:9], 56
	v_or_b32_e32 v29, v0, v28
	v_add_co_u32 v24, s5, v24, s14
	v_add_co_ci_u32_e64 v25, s5, s15, v25, s5
	s_lshl_b32 s5, s10, 2
	v_or_b32_e32 v6, 0, v1
	v_cndmask_b32_e32 v0, v29, v0, vcc_lo
	s_add_i32 s5, s5, 28
	v_readfirstlane_b32 s14, v24
	s_and_b32 s5, s5, 0x1e0
	v_cndmask_b32_e32 v1, v6, v1, vcc_lo
	v_readfirstlane_b32 s15, v25
	v_and_or_b32 v0, 0xffffff1f, v0, s5
	global_store_dwordx4 v41, v[0:3], s[14:15]
	global_store_dwordx4 v41, v[10:13], s[14:15] offset:16
	global_store_dwordx4 v41, v[14:17], s[14:15] offset:32
	;; [unrolled: 1-line block ×3, first 2 shown]
	s_and_saveexec_b32 s5, s4
	s_cbranch_execz .LBB6_118
; %bb.111:                              ;   in Loop: Header=BB6_53 Depth=1
	s_clause 0x1
	global_load_dwordx2 v[14:15], v7, s[38:39] offset:32 glc dlc
	global_load_dwordx2 v[0:1], v7, s[38:39] offset:40
	v_mov_b32_e32 v12, s12
	v_mov_b32_e32 v13, s13
	s_waitcnt vmcnt(0)
	v_readfirstlane_b32 s14, v0
	v_readfirstlane_b32 s15, v1
	s_and_b64 s[14:15], s[14:15], s[12:13]
	s_mul_i32 s15, s15, 24
	s_mul_hi_u32 s17, s14, 24
	s_mul_i32 s14, s14, 24
	s_add_i32 s17, s17, s15
	v_add_co_u32 v10, vcc_lo, v22, s14
	v_add_co_ci_u32_e32 v11, vcc_lo, s17, v23, vcc_lo
	s_mov_b32 s14, exec_lo
	global_store_dwordx2 v[10:11], v[14:15], off
	s_waitcnt_vscnt null, 0x0
	global_atomic_cmpswap_x2 v[2:3], v7, v[12:15], s[38:39] offset:32 glc
	s_waitcnt vmcnt(0)
	v_cmpx_ne_u64_e64 v[2:3], v[14:15]
	s_cbranch_execz .LBB6_114
; %bb.112:                              ;   in Loop: Header=BB6_53 Depth=1
	s_mov_b32 s15, 0
.LBB6_113:                              ;   Parent Loop BB6_53 Depth=1
                                        ; =>  This Inner Loop Header: Depth=2
	v_mov_b32_e32 v0, s12
	v_mov_b32_e32 v1, s13
	s_sleep 1
	global_store_dwordx2 v[10:11], v[2:3], off
	s_waitcnt_vscnt null, 0x0
	global_atomic_cmpswap_x2 v[0:1], v7, v[0:3], s[38:39] offset:32 glc
	s_waitcnt vmcnt(0)
	v_cmp_eq_u64_e32 vcc_lo, v[0:1], v[2:3]
	v_mov_b32_e32 v3, v1
	v_mov_b32_e32 v2, v0
	s_or_b32 s15, vcc_lo, s15
	s_andn2_b32 exec_lo, exec_lo, s15
	s_cbranch_execnz .LBB6_113
.LBB6_114:                              ;   in Loop: Header=BB6_53 Depth=1
	s_or_b32 exec_lo, exec_lo, s14
	global_load_dwordx2 v[0:1], v7, s[38:39] offset:16
	s_mov_b32 s15, exec_lo
	s_mov_b32 s14, exec_lo
	v_mbcnt_lo_u32_b32 v2, s15, 0
	v_cmpx_eq_u32_e32 0, v2
	s_cbranch_execz .LBB6_116
; %bb.115:                              ;   in Loop: Header=BB6_53 Depth=1
	s_bcnt1_i32_b32 s15, s15
	v_mov_b32_e32 v6, s15
	s_waitcnt vmcnt(0)
	global_atomic_add_x2 v[0:1], v[6:7], off offset:8
.LBB6_116:                              ;   in Loop: Header=BB6_53 Depth=1
	s_or_b32 exec_lo, exec_lo, s14
	s_waitcnt vmcnt(0)
	global_load_dwordx2 v[2:3], v[0:1], off offset:16
	s_waitcnt vmcnt(0)
	v_cmp_eq_u64_e32 vcc_lo, 0, v[2:3]
	s_cbranch_vccnz .LBB6_118
; %bb.117:                              ;   in Loop: Header=BB6_53 Depth=1
	global_load_dword v6, v[0:1], off offset:24
	s_waitcnt vmcnt(0)
	v_and_b32_e32 v0, 0x7fffff, v6
	s_waitcnt_vscnt null, 0x0
	global_store_dwordx2 v[2:3], v[6:7], off
	v_readfirstlane_b32 m0, v0
	s_sendmsg sendmsg(MSG_INTERRUPT)
.LBB6_118:                              ;   in Loop: Header=BB6_53 Depth=1
	s_or_b32 exec_lo, exec_lo, s5
	v_add_co_u32 v0, vcc_lo, v24, v41
	v_add_co_ci_u32_e32 v1, vcc_lo, 0, v25, vcc_lo
	s_branch .LBB6_122
	.p2align	6
.LBB6_119:                              ;   in Loop: Header=BB6_122 Depth=2
	s_or_b32 exec_lo, exec_lo, s5
	v_readfirstlane_b32 s5, v2
	s_cmp_eq_u32 s5, 0
	s_cbranch_scc1 .LBB6_121
; %bb.120:                              ;   in Loop: Header=BB6_122 Depth=2
	s_sleep 1
	s_cbranch_execnz .LBB6_122
	s_branch .LBB6_124
	.p2align	6
.LBB6_121:                              ;   in Loop: Header=BB6_53 Depth=1
	s_branch .LBB6_124
.LBB6_122:                              ;   Parent Loop BB6_53 Depth=1
                                        ; =>  This Inner Loop Header: Depth=2
	v_mov_b32_e32 v2, 1
	s_and_saveexec_b32 s5, s4
	s_cbranch_execz .LBB6_119
; %bb.123:                              ;   in Loop: Header=BB6_122 Depth=2
	global_load_dword v2, v[26:27], off offset:20 glc dlc
	s_waitcnt vmcnt(0)
	buffer_gl1_inv
	buffer_gl0_inv
	v_and_b32_e32 v2, 1, v2
	s_branch .LBB6_119
.LBB6_124:                              ;   in Loop: Header=BB6_53 Depth=1
	global_load_dwordx4 v[0:3], v[0:1], off
	s_and_saveexec_b32 s5, s4
	s_cbranch_execz .LBB6_52
; %bb.125:                              ;   in Loop: Header=BB6_53 Depth=1
	s_clause 0x2
	global_load_dwordx2 v[2:3], v7, s[38:39] offset:40
	global_load_dwordx2 v[14:15], v7, s[38:39] offset:24 glc dlc
	global_load_dwordx2 v[12:13], v7, s[38:39]
	s_waitcnt vmcnt(2)
	v_add_co_u32 v6, vcc_lo, v2, 1
	v_add_co_ci_u32_e32 v16, vcc_lo, 0, v3, vcc_lo
	v_add_co_u32 v10, vcc_lo, v6, s12
	v_add_co_ci_u32_e32 v11, vcc_lo, s13, v16, vcc_lo
	v_cmp_eq_u64_e32 vcc_lo, 0, v[10:11]
	v_cndmask_b32_e32 v11, v11, v16, vcc_lo
	v_cndmask_b32_e32 v10, v10, v6, vcc_lo
	v_and_b32_e32 v3, v11, v3
	v_and_b32_e32 v2, v10, v2
	v_mul_lo_u32 v3, v3, 24
	v_mul_hi_u32 v6, v2, 24
	v_mul_lo_u32 v2, v2, 24
	v_add_nc_u32_e32 v3, v6, v3
	s_waitcnt vmcnt(0)
	v_add_co_u32 v2, vcc_lo, v12, v2
	v_mov_b32_e32 v12, v14
	v_add_co_ci_u32_e32 v3, vcc_lo, v13, v3, vcc_lo
	v_mov_b32_e32 v13, v15
	global_store_dwordx2 v[2:3], v[14:15], off
	s_waitcnt_vscnt null, 0x0
	global_atomic_cmpswap_x2 v[12:13], v7, v[10:13], s[38:39] offset:24 glc
	s_waitcnt vmcnt(0)
	v_cmp_ne_u64_e32 vcc_lo, v[12:13], v[14:15]
	s_and_b32 exec_lo, exec_lo, vcc_lo
	s_cbranch_execz .LBB6_52
; %bb.126:                              ;   in Loop: Header=BB6_53 Depth=1
	s_mov_b32 s4, 0
.LBB6_127:                              ;   Parent Loop BB6_53 Depth=1
                                        ; =>  This Inner Loop Header: Depth=2
	s_sleep 1
	global_store_dwordx2 v[2:3], v[12:13], off
	s_waitcnt_vscnt null, 0x0
	global_atomic_cmpswap_x2 v[14:15], v7, v[10:13], s[38:39] offset:24 glc
	s_waitcnt vmcnt(0)
	v_cmp_eq_u64_e32 vcc_lo, v[14:15], v[12:13]
	v_mov_b32_e32 v12, v14
	v_mov_b32_e32 v13, v15
	s_or_b32 s4, vcc_lo, s4
	s_andn2_b32 exec_lo, exec_lo, s4
	s_cbranch_execnz .LBB6_127
	s_branch .LBB6_52
.LBB6_128:
	s_mov_b32 s4, 0
	s_branch .LBB6_130
.LBB6_129:
	s_mov_b32 s4, -1
                                        ; implicit-def: $vgpr0_vgpr1
.LBB6_130:
	s_and_b32 vcc_lo, exec_lo, s4
	s_cbranch_vccz .LBB6_158
; %bb.131:
	v_readfirstlane_b32 s4, v42
	v_mov_b32_e32 v7, 0
	v_mov_b32_e32 v8, 0
	v_cmp_eq_u32_e64 s4, s4, v42
	s_and_saveexec_b32 s5, s4
	s_cbranch_execz .LBB6_137
; %bb.132:
	s_waitcnt vmcnt(0)
	v_mov_b32_e32 v0, 0
	s_mov_b32 s6, exec_lo
	global_load_dwordx2 v[9:10], v0, s[38:39] offset:24 glc dlc
	s_waitcnt vmcnt(0)
	buffer_gl1_inv
	buffer_gl0_inv
	s_clause 0x1
	global_load_dwordx2 v[1:2], v0, s[38:39] offset:40
	global_load_dwordx2 v[6:7], v0, s[38:39]
	s_waitcnt vmcnt(1)
	v_and_b32_e32 v2, v2, v10
	v_and_b32_e32 v1, v1, v9
	v_mul_lo_u32 v2, v2, 24
	v_mul_hi_u32 v3, v1, 24
	v_mul_lo_u32 v1, v1, 24
	v_add_nc_u32_e32 v2, v3, v2
	s_waitcnt vmcnt(0)
	v_add_co_u32 v1, vcc_lo, v6, v1
	v_add_co_ci_u32_e32 v2, vcc_lo, v7, v2, vcc_lo
	global_load_dwordx2 v[7:8], v[1:2], off glc dlc
	s_waitcnt vmcnt(0)
	global_atomic_cmpswap_x2 v[7:8], v0, v[7:10], s[38:39] offset:24 glc
	s_waitcnt vmcnt(0)
	buffer_gl1_inv
	buffer_gl0_inv
	v_cmpx_ne_u64_e64 v[7:8], v[9:10]
	s_cbranch_execz .LBB6_136
; %bb.133:
	s_mov_b32 s7, 0
.LBB6_134:                              ; =>This Inner Loop Header: Depth=1
	s_sleep 1
	s_clause 0x1
	global_load_dwordx2 v[1:2], v0, s[38:39] offset:40
	global_load_dwordx2 v[11:12], v0, s[38:39]
	v_mov_b32_e32 v10, v8
	v_mov_b32_e32 v9, v7
	s_waitcnt vmcnt(1)
	v_and_b32_e32 v1, v1, v9
	v_and_b32_e32 v2, v2, v10
	s_waitcnt vmcnt(0)
	v_mad_u64_u32 v[6:7], null, v1, 24, v[11:12]
	v_mov_b32_e32 v1, v7
	v_mad_u64_u32 v[1:2], null, v2, 24, v[1:2]
	v_mov_b32_e32 v7, v1
	global_load_dwordx2 v[7:8], v[6:7], off glc dlc
	s_waitcnt vmcnt(0)
	global_atomic_cmpswap_x2 v[7:8], v0, v[7:10], s[38:39] offset:24 glc
	s_waitcnt vmcnt(0)
	buffer_gl1_inv
	buffer_gl0_inv
	v_cmp_eq_u64_e32 vcc_lo, v[7:8], v[9:10]
	s_or_b32 s7, vcc_lo, s7
	s_andn2_b32 exec_lo, exec_lo, s7
	s_cbranch_execnz .LBB6_134
; %bb.135:
	s_or_b32 exec_lo, exec_lo, s7
.LBB6_136:
	s_or_b32 exec_lo, exec_lo, s6
.LBB6_137:
	s_or_b32 exec_lo, exec_lo, s5
	v_mov_b32_e32 v6, 0
	v_readfirstlane_b32 s6, v7
	v_readfirstlane_b32 s7, v8
	s_mov_b32 s5, exec_lo
	s_clause 0x1
	global_load_dwordx2 v[9:10], v6, s[38:39] offset:40
	global_load_dwordx4 v[0:3], v6, s[38:39]
	s_waitcnt vmcnt(1)
	v_readfirstlane_b32 s8, v9
	v_readfirstlane_b32 s9, v10
	s_and_b64 s[8:9], s[6:7], s[8:9]
	s_mul_i32 s10, s9, 24
	s_mul_hi_u32 s11, s8, 24
	s_mul_i32 s12, s8, 24
	s_add_i32 s11, s11, s10
	s_waitcnt vmcnt(0)
	v_add_co_u32 v8, vcc_lo, v0, s12
	v_add_co_ci_u32_e32 v9, vcc_lo, s11, v1, vcc_lo
	s_and_saveexec_b32 s10, s4
	s_cbranch_execz .LBB6_139
; %bb.138:
	v_mov_b32_e32 v10, s5
	v_mov_b32_e32 v11, v6
	;; [unrolled: 1-line block ×4, first 2 shown]
	global_store_dwordx4 v[8:9], v[10:13], off offset:8
.LBB6_139:
	s_or_b32 exec_lo, exec_lo, s10
	s_lshl_b64 s[8:9], s[8:9], 12
	v_and_or_b32 v4, 0xffffff1f, v4, 32
	v_add_co_u32 v2, vcc_lo, v2, s8
	v_add_co_ci_u32_e32 v3, vcc_lo, s9, v3, vcc_lo
	s_mov_b32 s8, 0
	v_add_co_u32 v10, vcc_lo, v2, v41
	s_mov_b32 s11, s8
	s_mov_b32 s9, s8
	;; [unrolled: 1-line block ×3, first 2 shown]
	v_mov_b32_e32 v7, v6
	v_readfirstlane_b32 s12, v2
	v_readfirstlane_b32 s13, v3
	v_mov_b32_e32 v15, s11
	v_add_co_ci_u32_e32 v11, vcc_lo, 0, v3, vcc_lo
	v_mov_b32_e32 v14, s10
	v_mov_b32_e32 v13, s9
	;; [unrolled: 1-line block ×3, first 2 shown]
	global_store_dwordx4 v41, v[4:7], s[12:13]
	global_store_dwordx4 v41, v[12:15], s[12:13] offset:16
	global_store_dwordx4 v41, v[12:15], s[12:13] offset:32
	;; [unrolled: 1-line block ×3, first 2 shown]
	s_and_saveexec_b32 s5, s4
	s_cbranch_execz .LBB6_147
; %bb.140:
	v_mov_b32_e32 v6, 0
	v_mov_b32_e32 v12, s6
	;; [unrolled: 1-line block ×3, first 2 shown]
	s_clause 0x1
	global_load_dwordx2 v[14:15], v6, s[38:39] offset:32 glc dlc
	global_load_dwordx2 v[2:3], v6, s[38:39] offset:40
	s_waitcnt vmcnt(0)
	v_readfirstlane_b32 s8, v2
	v_readfirstlane_b32 s9, v3
	s_and_b64 s[8:9], s[8:9], s[6:7]
	s_mul_i32 s9, s9, 24
	s_mul_hi_u32 s10, s8, 24
	s_mul_i32 s8, s8, 24
	s_add_i32 s10, s10, s9
	v_add_co_u32 v4, vcc_lo, v0, s8
	v_add_co_ci_u32_e32 v5, vcc_lo, s10, v1, vcc_lo
	s_mov_b32 s8, exec_lo
	global_store_dwordx2 v[4:5], v[14:15], off
	s_waitcnt_vscnt null, 0x0
	global_atomic_cmpswap_x2 v[2:3], v6, v[12:15], s[38:39] offset:32 glc
	s_waitcnt vmcnt(0)
	v_cmpx_ne_u64_e64 v[2:3], v[14:15]
	s_cbranch_execz .LBB6_143
; %bb.141:
	s_mov_b32 s9, 0
.LBB6_142:                              ; =>This Inner Loop Header: Depth=1
	v_mov_b32_e32 v0, s6
	v_mov_b32_e32 v1, s7
	s_sleep 1
	global_store_dwordx2 v[4:5], v[2:3], off
	s_waitcnt_vscnt null, 0x0
	global_atomic_cmpswap_x2 v[0:1], v6, v[0:3], s[38:39] offset:32 glc
	s_waitcnt vmcnt(0)
	v_cmp_eq_u64_e32 vcc_lo, v[0:1], v[2:3]
	v_mov_b32_e32 v3, v1
	v_mov_b32_e32 v2, v0
	s_or_b32 s9, vcc_lo, s9
	s_andn2_b32 exec_lo, exec_lo, s9
	s_cbranch_execnz .LBB6_142
.LBB6_143:
	s_or_b32 exec_lo, exec_lo, s8
	v_mov_b32_e32 v3, 0
	s_mov_b32 s9, exec_lo
	s_mov_b32 s8, exec_lo
	v_mbcnt_lo_u32_b32 v2, s9, 0
	global_load_dwordx2 v[0:1], v3, s[38:39] offset:16
	v_cmpx_eq_u32_e32 0, v2
	s_cbranch_execz .LBB6_145
; %bb.144:
	s_bcnt1_i32_b32 s9, s9
	v_mov_b32_e32 v2, s9
	s_waitcnt vmcnt(0)
	global_atomic_add_x2 v[0:1], v[2:3], off offset:8
.LBB6_145:
	s_or_b32 exec_lo, exec_lo, s8
	s_waitcnt vmcnt(0)
	global_load_dwordx2 v[2:3], v[0:1], off offset:16
	s_waitcnt vmcnt(0)
	v_cmp_eq_u64_e32 vcc_lo, 0, v[2:3]
	s_cbranch_vccnz .LBB6_147
; %bb.146:
	global_load_dword v0, v[0:1], off offset:24
	v_mov_b32_e32 v1, 0
	s_waitcnt vmcnt(0)
	v_and_b32_e32 v4, 0x7fffff, v0
	s_waitcnt_vscnt null, 0x0
	global_store_dwordx2 v[2:3], v[0:1], off
	v_readfirstlane_b32 m0, v4
	s_sendmsg sendmsg(MSG_INTERRUPT)
.LBB6_147:
	s_or_b32 exec_lo, exec_lo, s5
	s_branch .LBB6_151
	.p2align	6
.LBB6_148:                              ;   in Loop: Header=BB6_151 Depth=1
	s_or_b32 exec_lo, exec_lo, s5
	v_readfirstlane_b32 s5, v0
	s_cmp_eq_u32 s5, 0
	s_cbranch_scc1 .LBB6_150
; %bb.149:                              ;   in Loop: Header=BB6_151 Depth=1
	s_sleep 1
	s_cbranch_execnz .LBB6_151
	s_branch .LBB6_153
.LBB6_150:
	s_branch .LBB6_153
.LBB6_151:                              ; =>This Inner Loop Header: Depth=1
	v_mov_b32_e32 v0, 1
	s_and_saveexec_b32 s5, s4
	s_cbranch_execz .LBB6_148
; %bb.152:                              ;   in Loop: Header=BB6_151 Depth=1
	global_load_dword v0, v[8:9], off offset:20 glc dlc
	s_waitcnt vmcnt(0)
	buffer_gl1_inv
	buffer_gl0_inv
	v_and_b32_e32 v0, 1, v0
	s_branch .LBB6_148
.LBB6_153:
	global_load_dwordx2 v[0:1], v[10:11], off
	s_and_saveexec_b32 s5, s4
	s_cbranch_execz .LBB6_157
; %bb.154:
	v_mov_b32_e32 v8, 0
	s_clause 0x2
	global_load_dwordx2 v[4:5], v8, s[38:39] offset:40
	global_load_dwordx2 v[9:10], v8, s[38:39] offset:24 glc dlc
	global_load_dwordx2 v[6:7], v8, s[38:39]
	s_waitcnt vmcnt(2)
	v_add_co_u32 v11, vcc_lo, v4, 1
	v_add_co_ci_u32_e32 v12, vcc_lo, 0, v5, vcc_lo
	v_add_co_u32 v2, vcc_lo, v11, s6
	v_add_co_ci_u32_e32 v3, vcc_lo, s7, v12, vcc_lo
	v_cmp_eq_u64_e32 vcc_lo, 0, v[2:3]
	v_cndmask_b32_e32 v3, v3, v12, vcc_lo
	v_cndmask_b32_e32 v2, v2, v11, vcc_lo
	v_and_b32_e32 v5, v3, v5
	v_and_b32_e32 v4, v2, v4
	v_mul_lo_u32 v5, v5, 24
	v_mul_hi_u32 v11, v4, 24
	v_mul_lo_u32 v4, v4, 24
	v_add_nc_u32_e32 v5, v11, v5
	s_waitcnt vmcnt(0)
	v_add_co_u32 v6, vcc_lo, v6, v4
	v_mov_b32_e32 v4, v9
	v_add_co_ci_u32_e32 v7, vcc_lo, v7, v5, vcc_lo
	v_mov_b32_e32 v5, v10
	global_store_dwordx2 v[6:7], v[9:10], off
	s_waitcnt_vscnt null, 0x0
	global_atomic_cmpswap_x2 v[4:5], v8, v[2:5], s[38:39] offset:24 glc
	s_waitcnt vmcnt(0)
	v_cmp_ne_u64_e32 vcc_lo, v[4:5], v[9:10]
	s_and_b32 exec_lo, exec_lo, vcc_lo
	s_cbranch_execz .LBB6_157
; %bb.155:
	s_mov_b32 s4, 0
.LBB6_156:                              ; =>This Inner Loop Header: Depth=1
	s_sleep 1
	global_store_dwordx2 v[6:7], v[4:5], off
	s_waitcnt_vscnt null, 0x0
	global_atomic_cmpswap_x2 v[9:10], v8, v[2:5], s[38:39] offset:24 glc
	s_waitcnt vmcnt(0)
	v_cmp_eq_u64_e32 vcc_lo, v[9:10], v[4:5]
	v_mov_b32_e32 v4, v9
	v_mov_b32_e32 v5, v10
	s_or_b32 s4, vcc_lo, s4
	s_andn2_b32 exec_lo, exec_lo, s4
	s_cbranch_execnz .LBB6_156
.LBB6_157:
	s_or_b32 exec_lo, exec_lo, s5
.LBB6_158:
	s_getpc_b64 s[6:7]
	s_add_u32 s6, s6, __PRETTY_FUNCTION__._ZL29array_apply_complex_operationRN8migraphx4test12test_managerE@rel32@lo+4
	s_addc_u32 s7, s7, __PRETTY_FUNCTION__._ZL29array_apply_complex_operationRN8migraphx4test12test_managerE@rel32@hi+12
	s_cmp_lg_u64 s[6:7], 0
	s_cbranch_scc0 .LBB6_237
; %bb.159:
	s_waitcnt vmcnt(0)
	v_and_b32_e32 v6, -3, v0
	v_mov_b32_e32 v7, v1
	v_mov_b32_e32 v3, 0
	;; [unrolled: 1-line block ×4, first 2 shown]
	s_mov_b64 s[8:9], 0x43
	s_branch .LBB6_161
.LBB6_160:                              ;   in Loop: Header=BB6_161 Depth=1
	s_or_b32 exec_lo, exec_lo, s5
	s_sub_u32 s8, s8, s10
	s_subb_u32 s9, s9, s11
	s_add_u32 s6, s6, s10
	s_addc_u32 s7, s7, s11
	s_cmp_lg_u64 s[8:9], 0
	s_cbranch_scc0 .LBB6_236
.LBB6_161:                              ; =>This Loop Header: Depth=1
                                        ;     Child Loop BB6_170 Depth 2
                                        ;     Child Loop BB6_166 Depth 2
	;; [unrolled: 1-line block ×11, first 2 shown]
	v_cmp_lt_u64_e64 s4, s[8:9], 56
	v_cmp_gt_u64_e64 s5, s[8:9], 7
                                        ; implicit-def: $sgpr17
	s_and_b32 s4, s4, exec_lo
	s_cselect_b32 s11, s9, 0
	s_cselect_b32 s10, s8, 56
	s_and_b32 vcc_lo, exec_lo, s5
	s_mov_b32 s4, -1
	s_cbranch_vccz .LBB6_168
; %bb.162:                              ;   in Loop: Header=BB6_161 Depth=1
	s_andn2_b32 vcc_lo, exec_lo, s4
	s_mov_b64 s[4:5], s[6:7]
	s_cbranch_vccz .LBB6_172
.LBB6_163:                              ;   in Loop: Header=BB6_161 Depth=1
	s_cmp_gt_u32 s17, 7
	s_cbranch_scc1 .LBB6_173
.LBB6_164:                              ;   in Loop: Header=BB6_161 Depth=1
	v_mov_b32_e32 v10, 0
	v_mov_b32_e32 v11, 0
	s_cmp_eq_u32 s17, 0
	s_cbranch_scc1 .LBB6_167
; %bb.165:                              ;   in Loop: Header=BB6_161 Depth=1
	s_mov_b64 s[12:13], 0
	s_mov_b64 s[14:15], 0
.LBB6_166:                              ;   Parent Loop BB6_161 Depth=1
                                        ; =>  This Inner Loop Header: Depth=2
	s_add_u32 s18, s4, s14
	s_addc_u32 s19, s5, s15
	s_add_u32 s14, s14, 1
	global_load_ubyte v2, v3, s[18:19]
	s_addc_u32 s15, s15, 0
	s_waitcnt vmcnt(0)
	v_and_b32_e32 v2, 0xffff, v2
	v_lshlrev_b64 v[12:13], s12, v[2:3]
	s_add_u32 s12, s12, 8
	s_addc_u32 s13, s13, 0
	s_cmp_lg_u32 s17, s14
	v_or_b32_e32 v10, v12, v10
	v_or_b32_e32 v11, v13, v11
	s_cbranch_scc1 .LBB6_166
.LBB6_167:                              ;   in Loop: Header=BB6_161 Depth=1
	s_mov_b32 s18, 0
	s_cbranch_execz .LBB6_174
	s_branch .LBB6_175
.LBB6_168:                              ;   in Loop: Header=BB6_161 Depth=1
	s_waitcnt vmcnt(0)
	v_mov_b32_e32 v8, 0
	v_mov_b32_e32 v9, 0
	s_cmp_eq_u64 s[8:9], 0
	s_mov_b64 s[4:5], 0
	s_cbranch_scc1 .LBB6_171
; %bb.169:                              ;   in Loop: Header=BB6_161 Depth=1
	v_mov_b32_e32 v8, 0
	v_mov_b32_e32 v9, 0
	s_lshl_b64 s[12:13], s[10:11], 3
	s_mov_b64 s[14:15], s[6:7]
.LBB6_170:                              ;   Parent Loop BB6_161 Depth=1
                                        ; =>  This Inner Loop Header: Depth=2
	global_load_ubyte v2, v3, s[14:15]
	s_waitcnt vmcnt(0)
	v_and_b32_e32 v2, 0xffff, v2
	v_lshlrev_b64 v[10:11], s4, v[2:3]
	s_add_u32 s4, s4, 8
	s_addc_u32 s5, s5, 0
	s_add_u32 s14, s14, 1
	s_addc_u32 s15, s15, 0
	s_cmp_lg_u32 s12, s4
	v_or_b32_e32 v8, v10, v8
	v_or_b32_e32 v9, v11, v9
	s_cbranch_scc1 .LBB6_170
.LBB6_171:                              ;   in Loop: Header=BB6_161 Depth=1
	s_mov_b32 s17, 0
	s_mov_b64 s[4:5], s[6:7]
	s_cbranch_execnz .LBB6_163
.LBB6_172:                              ;   in Loop: Header=BB6_161 Depth=1
	global_load_dwordx2 v[8:9], v3, s[6:7]
	s_add_i32 s17, s10, -8
	s_add_u32 s4, s6, 8
	s_addc_u32 s5, s7, 0
	s_cmp_gt_u32 s17, 7
	s_cbranch_scc0 .LBB6_164
.LBB6_173:                              ;   in Loop: Header=BB6_161 Depth=1
                                        ; implicit-def: $vgpr10_vgpr11
                                        ; implicit-def: $sgpr18
.LBB6_174:                              ;   in Loop: Header=BB6_161 Depth=1
	global_load_dwordx2 v[10:11], v3, s[4:5]
	s_add_i32 s18, s17, -8
	s_add_u32 s4, s4, 8
	s_addc_u32 s5, s5, 0
.LBB6_175:                              ;   in Loop: Header=BB6_161 Depth=1
	s_cmp_gt_u32 s18, 7
	s_cbranch_scc1 .LBB6_180
; %bb.176:                              ;   in Loop: Header=BB6_161 Depth=1
	v_mov_b32_e32 v12, 0
	v_mov_b32_e32 v13, 0
	s_cmp_eq_u32 s18, 0
	s_cbranch_scc1 .LBB6_179
; %bb.177:                              ;   in Loop: Header=BB6_161 Depth=1
	s_mov_b64 s[12:13], 0
	s_mov_b64 s[14:15], 0
.LBB6_178:                              ;   Parent Loop BB6_161 Depth=1
                                        ; =>  This Inner Loop Header: Depth=2
	s_add_u32 s20, s4, s14
	s_addc_u32 s21, s5, s15
	s_add_u32 s14, s14, 1
	global_load_ubyte v2, v3, s[20:21]
	s_addc_u32 s15, s15, 0
	s_waitcnt vmcnt(0)
	v_and_b32_e32 v2, 0xffff, v2
	v_lshlrev_b64 v[14:15], s12, v[2:3]
	s_add_u32 s12, s12, 8
	s_addc_u32 s13, s13, 0
	s_cmp_lg_u32 s18, s14
	v_or_b32_e32 v12, v14, v12
	v_or_b32_e32 v13, v15, v13
	s_cbranch_scc1 .LBB6_178
.LBB6_179:                              ;   in Loop: Header=BB6_161 Depth=1
	s_mov_b32 s17, 0
	s_cbranch_execz .LBB6_181
	s_branch .LBB6_182
.LBB6_180:                              ;   in Loop: Header=BB6_161 Depth=1
                                        ; implicit-def: $sgpr17
.LBB6_181:                              ;   in Loop: Header=BB6_161 Depth=1
	global_load_dwordx2 v[12:13], v3, s[4:5]
	s_add_i32 s17, s18, -8
	s_add_u32 s4, s4, 8
	s_addc_u32 s5, s5, 0
.LBB6_182:                              ;   in Loop: Header=BB6_161 Depth=1
	s_cmp_gt_u32 s17, 7
	s_cbranch_scc1 .LBB6_187
; %bb.183:                              ;   in Loop: Header=BB6_161 Depth=1
	v_mov_b32_e32 v14, 0
	v_mov_b32_e32 v15, 0
	s_cmp_eq_u32 s17, 0
	s_cbranch_scc1 .LBB6_186
; %bb.184:                              ;   in Loop: Header=BB6_161 Depth=1
	s_mov_b64 s[12:13], 0
	s_mov_b64 s[14:15], 0
.LBB6_185:                              ;   Parent Loop BB6_161 Depth=1
                                        ; =>  This Inner Loop Header: Depth=2
	s_add_u32 s18, s4, s14
	s_addc_u32 s19, s5, s15
	s_add_u32 s14, s14, 1
	global_load_ubyte v2, v3, s[18:19]
	s_addc_u32 s15, s15, 0
	s_waitcnt vmcnt(0)
	v_and_b32_e32 v2, 0xffff, v2
	v_lshlrev_b64 v[16:17], s12, v[2:3]
	s_add_u32 s12, s12, 8
	s_addc_u32 s13, s13, 0
	s_cmp_lg_u32 s17, s14
	v_or_b32_e32 v14, v16, v14
	v_or_b32_e32 v15, v17, v15
	s_cbranch_scc1 .LBB6_185
.LBB6_186:                              ;   in Loop: Header=BB6_161 Depth=1
	s_mov_b32 s18, 0
	s_cbranch_execz .LBB6_188
	s_branch .LBB6_189
.LBB6_187:                              ;   in Loop: Header=BB6_161 Depth=1
                                        ; implicit-def: $vgpr14_vgpr15
                                        ; implicit-def: $sgpr18
.LBB6_188:                              ;   in Loop: Header=BB6_161 Depth=1
	global_load_dwordx2 v[14:15], v3, s[4:5]
	s_add_i32 s18, s17, -8
	s_add_u32 s4, s4, 8
	s_addc_u32 s5, s5, 0
.LBB6_189:                              ;   in Loop: Header=BB6_161 Depth=1
	s_cmp_gt_u32 s18, 7
	s_cbranch_scc1 .LBB6_194
; %bb.190:                              ;   in Loop: Header=BB6_161 Depth=1
	v_mov_b32_e32 v16, 0
	v_mov_b32_e32 v17, 0
	s_cmp_eq_u32 s18, 0
	s_cbranch_scc1 .LBB6_193
; %bb.191:                              ;   in Loop: Header=BB6_161 Depth=1
	s_mov_b64 s[12:13], 0
	s_mov_b64 s[14:15], 0
.LBB6_192:                              ;   Parent Loop BB6_161 Depth=1
                                        ; =>  This Inner Loop Header: Depth=2
	s_add_u32 s20, s4, s14
	s_addc_u32 s21, s5, s15
	s_add_u32 s14, s14, 1
	global_load_ubyte v2, v3, s[20:21]
	s_addc_u32 s15, s15, 0
	s_waitcnt vmcnt(0)
	v_and_b32_e32 v2, 0xffff, v2
	v_lshlrev_b64 v[18:19], s12, v[2:3]
	s_add_u32 s12, s12, 8
	s_addc_u32 s13, s13, 0
	s_cmp_lg_u32 s18, s14
	v_or_b32_e32 v16, v18, v16
	v_or_b32_e32 v17, v19, v17
	s_cbranch_scc1 .LBB6_192
.LBB6_193:                              ;   in Loop: Header=BB6_161 Depth=1
	s_mov_b32 s17, 0
	s_cbranch_execz .LBB6_195
	s_branch .LBB6_196
.LBB6_194:                              ;   in Loop: Header=BB6_161 Depth=1
                                        ; implicit-def: $sgpr17
.LBB6_195:                              ;   in Loop: Header=BB6_161 Depth=1
	global_load_dwordx2 v[16:17], v3, s[4:5]
	s_add_i32 s17, s18, -8
	s_add_u32 s4, s4, 8
	s_addc_u32 s5, s5, 0
.LBB6_196:                              ;   in Loop: Header=BB6_161 Depth=1
	s_cmp_gt_u32 s17, 7
	s_cbranch_scc1 .LBB6_201
; %bb.197:                              ;   in Loop: Header=BB6_161 Depth=1
	v_mov_b32_e32 v18, 0
	v_mov_b32_e32 v19, 0
	s_cmp_eq_u32 s17, 0
	s_cbranch_scc1 .LBB6_200
; %bb.198:                              ;   in Loop: Header=BB6_161 Depth=1
	s_mov_b64 s[12:13], 0
	s_mov_b64 s[14:15], 0
.LBB6_199:                              ;   Parent Loop BB6_161 Depth=1
                                        ; =>  This Inner Loop Header: Depth=2
	s_add_u32 s18, s4, s14
	s_addc_u32 s19, s5, s15
	s_add_u32 s14, s14, 1
	global_load_ubyte v2, v3, s[18:19]
	s_addc_u32 s15, s15, 0
	s_waitcnt vmcnt(0)
	v_and_b32_e32 v2, 0xffff, v2
	v_lshlrev_b64 v[20:21], s12, v[2:3]
	s_add_u32 s12, s12, 8
	s_addc_u32 s13, s13, 0
	s_cmp_lg_u32 s17, s14
	v_or_b32_e32 v18, v20, v18
	v_or_b32_e32 v19, v21, v19
	s_cbranch_scc1 .LBB6_199
.LBB6_200:                              ;   in Loop: Header=BB6_161 Depth=1
	s_mov_b32 s18, 0
	s_cbranch_execz .LBB6_202
	s_branch .LBB6_203
.LBB6_201:                              ;   in Loop: Header=BB6_161 Depth=1
                                        ; implicit-def: $vgpr18_vgpr19
                                        ; implicit-def: $sgpr18
.LBB6_202:                              ;   in Loop: Header=BB6_161 Depth=1
	global_load_dwordx2 v[18:19], v3, s[4:5]
	s_add_i32 s18, s17, -8
	s_add_u32 s4, s4, 8
	s_addc_u32 s5, s5, 0
.LBB6_203:                              ;   in Loop: Header=BB6_161 Depth=1
	s_cmp_gt_u32 s18, 7
	s_cbranch_scc1 .LBB6_208
; %bb.204:                              ;   in Loop: Header=BB6_161 Depth=1
	v_mov_b32_e32 v20, 0
	v_mov_b32_e32 v21, 0
	s_cmp_eq_u32 s18, 0
	s_cbranch_scc1 .LBB6_207
; %bb.205:                              ;   in Loop: Header=BB6_161 Depth=1
	s_mov_b64 s[12:13], 0
	s_mov_b64 s[14:15], s[4:5]
.LBB6_206:                              ;   Parent Loop BB6_161 Depth=1
                                        ; =>  This Inner Loop Header: Depth=2
	global_load_ubyte v2, v3, s[14:15]
	s_add_i32 s18, s18, -1
	s_waitcnt vmcnt(0)
	v_and_b32_e32 v2, 0xffff, v2
	v_lshlrev_b64 v[22:23], s12, v[2:3]
	s_add_u32 s12, s12, 8
	s_addc_u32 s13, s13, 0
	s_add_u32 s14, s14, 1
	s_addc_u32 s15, s15, 0
	s_cmp_lg_u32 s18, 0
	v_or_b32_e32 v20, v22, v20
	v_or_b32_e32 v21, v23, v21
	s_cbranch_scc1 .LBB6_206
.LBB6_207:                              ;   in Loop: Header=BB6_161 Depth=1
	s_cbranch_execz .LBB6_209
	s_branch .LBB6_210
.LBB6_208:                              ;   in Loop: Header=BB6_161 Depth=1
.LBB6_209:                              ;   in Loop: Header=BB6_161 Depth=1
	global_load_dwordx2 v[20:21], v3, s[4:5]
.LBB6_210:                              ;   in Loop: Header=BB6_161 Depth=1
	v_readfirstlane_b32 s4, v42
	v_mov_b32_e32 v26, 0
	v_mov_b32_e32 v27, 0
	v_cmp_eq_u32_e64 s4, s4, v42
	s_and_saveexec_b32 s5, s4
	s_cbranch_execz .LBB6_216
; %bb.211:                              ;   in Loop: Header=BB6_161 Depth=1
	global_load_dwordx2 v[24:25], v3, s[38:39] offset:24 glc dlc
	s_waitcnt vmcnt(0)
	buffer_gl1_inv
	buffer_gl0_inv
	s_clause 0x1
	global_load_dwordx2 v[22:23], v3, s[38:39] offset:40
	global_load_dwordx2 v[26:27], v3, s[38:39]
	s_mov_b32 s12, exec_lo
	s_waitcnt vmcnt(1)
	v_and_b32_e32 v2, v23, v25
	v_and_b32_e32 v22, v22, v24
	v_mul_lo_u32 v2, v2, 24
	v_mul_hi_u32 v23, v22, 24
	v_mul_lo_u32 v22, v22, 24
	v_add_nc_u32_e32 v2, v23, v2
	s_waitcnt vmcnt(0)
	v_add_co_u32 v22, vcc_lo, v26, v22
	v_add_co_ci_u32_e32 v23, vcc_lo, v27, v2, vcc_lo
	global_load_dwordx2 v[22:23], v[22:23], off glc dlc
	s_waitcnt vmcnt(0)
	global_atomic_cmpswap_x2 v[26:27], v3, v[22:25], s[38:39] offset:24 glc
	s_waitcnt vmcnt(0)
	buffer_gl1_inv
	buffer_gl0_inv
	v_cmpx_ne_u64_e64 v[26:27], v[24:25]
	s_cbranch_execz .LBB6_215
; %bb.212:                              ;   in Loop: Header=BB6_161 Depth=1
	s_mov_b32 s13, 0
	.p2align	6
.LBB6_213:                              ;   Parent Loop BB6_161 Depth=1
                                        ; =>  This Inner Loop Header: Depth=2
	s_sleep 1
	s_clause 0x1
	global_load_dwordx2 v[22:23], v3, s[38:39] offset:40
	global_load_dwordx2 v[28:29], v3, s[38:39]
	v_mov_b32_e32 v24, v26
	v_mov_b32_e32 v25, v27
	s_waitcnt vmcnt(1)
	v_and_b32_e32 v2, v22, v24
	v_and_b32_e32 v22, v23, v25
	s_waitcnt vmcnt(0)
	v_mad_u64_u32 v[26:27], null, v2, 24, v[28:29]
	v_mov_b32_e32 v2, v27
	v_mad_u64_u32 v[22:23], null, v22, 24, v[2:3]
	v_mov_b32_e32 v27, v22
	global_load_dwordx2 v[22:23], v[26:27], off glc dlc
	s_waitcnt vmcnt(0)
	global_atomic_cmpswap_x2 v[26:27], v3, v[22:25], s[38:39] offset:24 glc
	s_waitcnt vmcnt(0)
	buffer_gl1_inv
	buffer_gl0_inv
	v_cmp_eq_u64_e32 vcc_lo, v[26:27], v[24:25]
	s_or_b32 s13, vcc_lo, s13
	s_andn2_b32 exec_lo, exec_lo, s13
	s_cbranch_execnz .LBB6_213
; %bb.214:                              ;   in Loop: Header=BB6_161 Depth=1
	s_or_b32 exec_lo, exec_lo, s13
.LBB6_215:                              ;   in Loop: Header=BB6_161 Depth=1
	s_or_b32 exec_lo, exec_lo, s12
.LBB6_216:                              ;   in Loop: Header=BB6_161 Depth=1
	s_or_b32 exec_lo, exec_lo, s5
	s_clause 0x1
	global_load_dwordx2 v[28:29], v3, s[38:39] offset:40
	global_load_dwordx4 v[22:25], v3, s[38:39]
	v_readfirstlane_b32 s12, v26
	v_readfirstlane_b32 s13, v27
	s_mov_b32 s5, exec_lo
	s_waitcnt vmcnt(1)
	v_readfirstlane_b32 s14, v28
	v_readfirstlane_b32 s15, v29
	s_and_b64 s[14:15], s[12:13], s[14:15]
	s_mul_i32 s17, s15, 24
	s_mul_hi_u32 s18, s14, 24
	s_mul_i32 s19, s14, 24
	s_add_i32 s18, s18, s17
	s_waitcnt vmcnt(0)
	v_add_co_u32 v26, vcc_lo, v22, s19
	v_add_co_ci_u32_e32 v27, vcc_lo, s18, v23, vcc_lo
	s_and_saveexec_b32 s17, s4
	s_cbranch_execz .LBB6_218
; %bb.217:                              ;   in Loop: Header=BB6_161 Depth=1
	v_mov_b32_e32 v2, s5
	global_store_dwordx4 v[26:27], v[2:5], off offset:8
.LBB6_218:                              ;   in Loop: Header=BB6_161 Depth=1
	s_or_b32 exec_lo, exec_lo, s17
	s_lshl_b64 s[14:15], s[14:15], 12
	v_or_b32_e32 v2, 2, v6
	v_add_co_u32 v24, vcc_lo, v24, s14
	v_add_co_ci_u32_e32 v25, vcc_lo, s15, v25, vcc_lo
	v_cmp_gt_u64_e64 vcc_lo, s[8:9], 56
	s_lshl_b32 s5, s10, 2
	v_readfirstlane_b32 s14, v24
	s_add_i32 s5, s5, 28
	v_readfirstlane_b32 s15, v25
	s_and_b32 s5, s5, 0x1e0
	v_cndmask_b32_e32 v2, v2, v6, vcc_lo
	v_and_or_b32 v6, 0xffffff1f, v2, s5
	global_store_dwordx4 v41, v[10:13], s[14:15] offset:16
	global_store_dwordx4 v41, v[6:9], s[14:15]
	global_store_dwordx4 v41, v[14:17], s[14:15] offset:32
	global_store_dwordx4 v41, v[18:21], s[14:15] offset:48
	s_and_saveexec_b32 s5, s4
	s_cbranch_execz .LBB6_226
; %bb.219:                              ;   in Loop: Header=BB6_161 Depth=1
	s_clause 0x1
	global_load_dwordx2 v[14:15], v3, s[38:39] offset:32 glc dlc
	global_load_dwordx2 v[6:7], v3, s[38:39] offset:40
	v_mov_b32_e32 v12, s12
	v_mov_b32_e32 v13, s13
	s_waitcnt vmcnt(0)
	v_readfirstlane_b32 s14, v6
	v_readfirstlane_b32 s15, v7
	s_and_b64 s[14:15], s[14:15], s[12:13]
	s_mul_i32 s15, s15, 24
	s_mul_hi_u32 s17, s14, 24
	s_mul_i32 s14, s14, 24
	s_add_i32 s17, s17, s15
	v_add_co_u32 v10, vcc_lo, v22, s14
	v_add_co_ci_u32_e32 v11, vcc_lo, s17, v23, vcc_lo
	s_mov_b32 s14, exec_lo
	global_store_dwordx2 v[10:11], v[14:15], off
	s_waitcnt_vscnt null, 0x0
	global_atomic_cmpswap_x2 v[8:9], v3, v[12:15], s[38:39] offset:32 glc
	s_waitcnt vmcnt(0)
	v_cmpx_ne_u64_e64 v[8:9], v[14:15]
	s_cbranch_execz .LBB6_222
; %bb.220:                              ;   in Loop: Header=BB6_161 Depth=1
	s_mov_b32 s15, 0
.LBB6_221:                              ;   Parent Loop BB6_161 Depth=1
                                        ; =>  This Inner Loop Header: Depth=2
	v_mov_b32_e32 v6, s12
	v_mov_b32_e32 v7, s13
	s_sleep 1
	global_store_dwordx2 v[10:11], v[8:9], off
	s_waitcnt_vscnt null, 0x0
	global_atomic_cmpswap_x2 v[6:7], v3, v[6:9], s[38:39] offset:32 glc
	s_waitcnt vmcnt(0)
	v_cmp_eq_u64_e32 vcc_lo, v[6:7], v[8:9]
	v_mov_b32_e32 v9, v7
	v_mov_b32_e32 v8, v6
	s_or_b32 s15, vcc_lo, s15
	s_andn2_b32 exec_lo, exec_lo, s15
	s_cbranch_execnz .LBB6_221
.LBB6_222:                              ;   in Loop: Header=BB6_161 Depth=1
	s_or_b32 exec_lo, exec_lo, s14
	global_load_dwordx2 v[6:7], v3, s[38:39] offset:16
	s_mov_b32 s15, exec_lo
	s_mov_b32 s14, exec_lo
	v_mbcnt_lo_u32_b32 v2, s15, 0
	v_cmpx_eq_u32_e32 0, v2
	s_cbranch_execz .LBB6_224
; %bb.223:                              ;   in Loop: Header=BB6_161 Depth=1
	s_bcnt1_i32_b32 s15, s15
	v_mov_b32_e32 v2, s15
	s_waitcnt vmcnt(0)
	global_atomic_add_x2 v[6:7], v[2:3], off offset:8
.LBB6_224:                              ;   in Loop: Header=BB6_161 Depth=1
	s_or_b32 exec_lo, exec_lo, s14
	s_waitcnt vmcnt(0)
	global_load_dwordx2 v[8:9], v[6:7], off offset:16
	s_waitcnt vmcnt(0)
	v_cmp_eq_u64_e32 vcc_lo, 0, v[8:9]
	s_cbranch_vccnz .LBB6_226
; %bb.225:                              ;   in Loop: Header=BB6_161 Depth=1
	global_load_dword v2, v[6:7], off offset:24
	s_waitcnt vmcnt(0)
	v_and_b32_e32 v6, 0x7fffff, v2
	s_waitcnt_vscnt null, 0x0
	global_store_dwordx2 v[8:9], v[2:3], off
	v_readfirstlane_b32 m0, v6
	s_sendmsg sendmsg(MSG_INTERRUPT)
.LBB6_226:                              ;   in Loop: Header=BB6_161 Depth=1
	s_or_b32 exec_lo, exec_lo, s5
	v_add_co_u32 v6, vcc_lo, v24, v41
	v_add_co_ci_u32_e32 v7, vcc_lo, 0, v25, vcc_lo
	s_branch .LBB6_230
	.p2align	6
.LBB6_227:                              ;   in Loop: Header=BB6_230 Depth=2
	s_or_b32 exec_lo, exec_lo, s5
	v_readfirstlane_b32 s5, v2
	s_cmp_eq_u32 s5, 0
	s_cbranch_scc1 .LBB6_229
; %bb.228:                              ;   in Loop: Header=BB6_230 Depth=2
	s_sleep 1
	s_cbranch_execnz .LBB6_230
	s_branch .LBB6_232
	.p2align	6
.LBB6_229:                              ;   in Loop: Header=BB6_161 Depth=1
	s_branch .LBB6_232
.LBB6_230:                              ;   Parent Loop BB6_161 Depth=1
                                        ; =>  This Inner Loop Header: Depth=2
	v_mov_b32_e32 v2, 1
	s_and_saveexec_b32 s5, s4
	s_cbranch_execz .LBB6_227
; %bb.231:                              ;   in Loop: Header=BB6_230 Depth=2
	global_load_dword v2, v[26:27], off offset:20 glc dlc
	s_waitcnt vmcnt(0)
	buffer_gl1_inv
	buffer_gl0_inv
	v_and_b32_e32 v2, 1, v2
	s_branch .LBB6_227
.LBB6_232:                              ;   in Loop: Header=BB6_161 Depth=1
	global_load_dwordx4 v[6:9], v[6:7], off
	s_and_saveexec_b32 s5, s4
	s_cbranch_execz .LBB6_160
; %bb.233:                              ;   in Loop: Header=BB6_161 Depth=1
	s_clause 0x2
	global_load_dwordx2 v[10:11], v3, s[38:39] offset:40
	global_load_dwordx2 v[14:15], v3, s[38:39] offset:24 glc dlc
	global_load_dwordx2 v[12:13], v3, s[38:39]
	s_waitcnt vmcnt(2)
	v_add_co_u32 v2, vcc_lo, v10, 1
	v_add_co_ci_u32_e32 v16, vcc_lo, 0, v11, vcc_lo
	v_add_co_u32 v8, vcc_lo, v2, s12
	v_add_co_ci_u32_e32 v9, vcc_lo, s13, v16, vcc_lo
	v_cmp_eq_u64_e32 vcc_lo, 0, v[8:9]
	v_cndmask_b32_e32 v9, v9, v16, vcc_lo
	v_cndmask_b32_e32 v8, v8, v2, vcc_lo
	v_and_b32_e32 v2, v9, v11
	v_and_b32_e32 v10, v8, v10
	v_mul_lo_u32 v2, v2, 24
	v_mul_hi_u32 v11, v10, 24
	v_mul_lo_u32 v10, v10, 24
	v_add_nc_u32_e32 v2, v11, v2
	s_waitcnt vmcnt(0)
	v_add_co_u32 v12, vcc_lo, v12, v10
	v_mov_b32_e32 v10, v14
	v_mov_b32_e32 v11, v15
	v_add_co_ci_u32_e32 v13, vcc_lo, v13, v2, vcc_lo
	global_store_dwordx2 v[12:13], v[14:15], off
	s_waitcnt_vscnt null, 0x0
	global_atomic_cmpswap_x2 v[10:11], v3, v[8:11], s[38:39] offset:24 glc
	s_waitcnt vmcnt(0)
	v_cmp_ne_u64_e32 vcc_lo, v[10:11], v[14:15]
	s_and_b32 exec_lo, exec_lo, vcc_lo
	s_cbranch_execz .LBB6_160
; %bb.234:                              ;   in Loop: Header=BB6_161 Depth=1
	s_mov_b32 s4, 0
.LBB6_235:                              ;   Parent Loop BB6_161 Depth=1
                                        ; =>  This Inner Loop Header: Depth=2
	s_sleep 1
	global_store_dwordx2 v[12:13], v[10:11], off
	s_waitcnt_vscnt null, 0x0
	global_atomic_cmpswap_x2 v[14:15], v3, v[8:11], s[38:39] offset:24 glc
	s_waitcnt vmcnt(0)
	v_cmp_eq_u64_e32 vcc_lo, v[14:15], v[10:11]
	v_mov_b32_e32 v10, v14
	v_mov_b32_e32 v11, v15
	s_or_b32 s4, vcc_lo, s4
	s_andn2_b32 exec_lo, exec_lo, s4
	s_cbranch_execnz .LBB6_235
	s_branch .LBB6_160
.LBB6_236:
	s_mov_b32 s4, 0
	s_branch .LBB6_238
.LBB6_237:
	s_mov_b32 s4, -1
.LBB6_238:
	s_and_b32 vcc_lo, exec_lo, s4
	s_cbranch_vccz .LBB6_266
; %bb.239:
	v_readfirstlane_b32 s4, v42
	s_waitcnt vmcnt(0)
	v_mov_b32_e32 v8, 0
	v_mov_b32_e32 v9, 0
	v_cmp_eq_u32_e64 s4, s4, v42
	s_and_saveexec_b32 s5, s4
	s_cbranch_execz .LBB6_245
; %bb.240:
	v_mov_b32_e32 v2, 0
	s_mov_b32 s6, exec_lo
	global_load_dwordx2 v[5:6], v2, s[38:39] offset:24 glc dlc
	s_waitcnt vmcnt(0)
	buffer_gl1_inv
	buffer_gl0_inv
	s_clause 0x1
	global_load_dwordx2 v[3:4], v2, s[38:39] offset:40
	global_load_dwordx2 v[7:8], v2, s[38:39]
	s_waitcnt vmcnt(1)
	v_and_b32_e32 v4, v4, v6
	v_and_b32_e32 v3, v3, v5
	v_mul_lo_u32 v4, v4, 24
	v_mul_hi_u32 v9, v3, 24
	v_mul_lo_u32 v3, v3, 24
	v_add_nc_u32_e32 v4, v9, v4
	s_waitcnt vmcnt(0)
	v_add_co_u32 v3, vcc_lo, v7, v3
	v_add_co_ci_u32_e32 v4, vcc_lo, v8, v4, vcc_lo
	global_load_dwordx2 v[3:4], v[3:4], off glc dlc
	s_waitcnt vmcnt(0)
	global_atomic_cmpswap_x2 v[8:9], v2, v[3:6], s[38:39] offset:24 glc
	s_waitcnt vmcnt(0)
	buffer_gl1_inv
	buffer_gl0_inv
	v_cmpx_ne_u64_e64 v[8:9], v[5:6]
	s_cbranch_execz .LBB6_244
; %bb.241:
	s_mov_b32 s7, 0
.LBB6_242:                              ; =>This Inner Loop Header: Depth=1
	s_sleep 1
	s_clause 0x1
	global_load_dwordx2 v[3:4], v2, s[38:39] offset:40
	global_load_dwordx2 v[10:11], v2, s[38:39]
	v_mov_b32_e32 v5, v8
	v_mov_b32_e32 v6, v9
	s_waitcnt vmcnt(1)
	v_and_b32_e32 v3, v3, v5
	v_and_b32_e32 v4, v4, v6
	s_waitcnt vmcnt(0)
	v_mad_u64_u32 v[7:8], null, v3, 24, v[10:11]
	v_mov_b32_e32 v3, v8
	v_mad_u64_u32 v[3:4], null, v4, 24, v[3:4]
	v_mov_b32_e32 v8, v3
	global_load_dwordx2 v[3:4], v[7:8], off glc dlc
	s_waitcnt vmcnt(0)
	global_atomic_cmpswap_x2 v[8:9], v2, v[3:6], s[38:39] offset:24 glc
	s_waitcnt vmcnt(0)
	buffer_gl1_inv
	buffer_gl0_inv
	v_cmp_eq_u64_e32 vcc_lo, v[8:9], v[5:6]
	s_or_b32 s7, vcc_lo, s7
	s_andn2_b32 exec_lo, exec_lo, s7
	s_cbranch_execnz .LBB6_242
; %bb.243:
	s_or_b32 exec_lo, exec_lo, s7
.LBB6_244:
	s_or_b32 exec_lo, exec_lo, s6
.LBB6_245:
	s_or_b32 exec_lo, exec_lo, s5
	v_mov_b32_e32 v2, 0
	v_readfirstlane_b32 s6, v8
	v_readfirstlane_b32 s7, v9
	s_mov_b32 s5, exec_lo
	s_clause 0x1
	global_load_dwordx2 v[10:11], v2, s[38:39] offset:40
	global_load_dwordx4 v[4:7], v2, s[38:39]
	s_waitcnt vmcnt(1)
	v_readfirstlane_b32 s8, v10
	v_readfirstlane_b32 s9, v11
	s_and_b64 s[8:9], s[6:7], s[8:9]
	s_mul_i32 s10, s9, 24
	s_mul_hi_u32 s11, s8, 24
	s_mul_i32 s12, s8, 24
	s_add_i32 s11, s11, s10
	s_waitcnt vmcnt(0)
	v_add_co_u32 v8, vcc_lo, v4, s12
	v_add_co_ci_u32_e32 v9, vcc_lo, s11, v5, vcc_lo
	s_and_saveexec_b32 s10, s4
	s_cbranch_execz .LBB6_247
; %bb.246:
	v_mov_b32_e32 v10, s5
	v_mov_b32_e32 v11, v2
	;; [unrolled: 1-line block ×4, first 2 shown]
	global_store_dwordx4 v[8:9], v[10:13], off offset:8
.LBB6_247:
	s_or_b32 exec_lo, exec_lo, s10
	s_lshl_b64 s[8:9], s[8:9], 12
	v_and_or_b32 v0, 0xffffff1d, v0, 34
	v_add_co_u32 v6, vcc_lo, v6, s8
	v_add_co_ci_u32_e32 v7, vcc_lo, s9, v7, vcc_lo
	s_mov_b32 s8, 0
	v_mov_b32_e32 v3, v2
	s_mov_b32 s11, s8
	s_mov_b32 s9, s8
	;; [unrolled: 1-line block ×3, first 2 shown]
	v_readfirstlane_b32 s12, v6
	v_readfirstlane_b32 s13, v7
	v_mov_b32_e32 v13, s11
	v_mov_b32_e32 v12, s10
	;; [unrolled: 1-line block ×4, first 2 shown]
	global_store_dwordx4 v41, v[0:3], s[12:13]
	global_store_dwordx4 v41, v[10:13], s[12:13] offset:16
	global_store_dwordx4 v41, v[10:13], s[12:13] offset:32
	;; [unrolled: 1-line block ×3, first 2 shown]
	s_and_saveexec_b32 s5, s4
	s_cbranch_execz .LBB6_255
; %bb.248:
	v_mov_b32_e32 v6, 0
	v_mov_b32_e32 v10, s6
	;; [unrolled: 1-line block ×3, first 2 shown]
	s_clause 0x1
	global_load_dwordx2 v[12:13], v6, s[38:39] offset:32 glc dlc
	global_load_dwordx2 v[0:1], v6, s[38:39] offset:40
	s_waitcnt vmcnt(0)
	v_readfirstlane_b32 s8, v0
	v_readfirstlane_b32 s9, v1
	s_and_b64 s[8:9], s[8:9], s[6:7]
	s_mul_i32 s9, s9, 24
	s_mul_hi_u32 s10, s8, 24
	s_mul_i32 s8, s8, 24
	s_add_i32 s10, s10, s9
	v_add_co_u32 v4, vcc_lo, v4, s8
	v_add_co_ci_u32_e32 v5, vcc_lo, s10, v5, vcc_lo
	s_mov_b32 s8, exec_lo
	global_store_dwordx2 v[4:5], v[12:13], off
	s_waitcnt_vscnt null, 0x0
	global_atomic_cmpswap_x2 v[2:3], v6, v[10:13], s[38:39] offset:32 glc
	s_waitcnt vmcnt(0)
	v_cmpx_ne_u64_e64 v[2:3], v[12:13]
	s_cbranch_execz .LBB6_251
; %bb.249:
	s_mov_b32 s9, 0
.LBB6_250:                              ; =>This Inner Loop Header: Depth=1
	v_mov_b32_e32 v0, s6
	v_mov_b32_e32 v1, s7
	s_sleep 1
	global_store_dwordx2 v[4:5], v[2:3], off
	s_waitcnt_vscnt null, 0x0
	global_atomic_cmpswap_x2 v[0:1], v6, v[0:3], s[38:39] offset:32 glc
	s_waitcnt vmcnt(0)
	v_cmp_eq_u64_e32 vcc_lo, v[0:1], v[2:3]
	v_mov_b32_e32 v3, v1
	v_mov_b32_e32 v2, v0
	s_or_b32 s9, vcc_lo, s9
	s_andn2_b32 exec_lo, exec_lo, s9
	s_cbranch_execnz .LBB6_250
.LBB6_251:
	s_or_b32 exec_lo, exec_lo, s8
	v_mov_b32_e32 v3, 0
	s_mov_b32 s9, exec_lo
	s_mov_b32 s8, exec_lo
	v_mbcnt_lo_u32_b32 v2, s9, 0
	global_load_dwordx2 v[0:1], v3, s[38:39] offset:16
	v_cmpx_eq_u32_e32 0, v2
	s_cbranch_execz .LBB6_253
; %bb.252:
	s_bcnt1_i32_b32 s9, s9
	v_mov_b32_e32 v2, s9
	s_waitcnt vmcnt(0)
	global_atomic_add_x2 v[0:1], v[2:3], off offset:8
.LBB6_253:
	s_or_b32 exec_lo, exec_lo, s8
	s_waitcnt vmcnt(0)
	global_load_dwordx2 v[2:3], v[0:1], off offset:16
	s_waitcnt vmcnt(0)
	v_cmp_eq_u64_e32 vcc_lo, 0, v[2:3]
	s_cbranch_vccnz .LBB6_255
; %bb.254:
	global_load_dword v0, v[0:1], off offset:24
	v_mov_b32_e32 v1, 0
	s_waitcnt vmcnt(0)
	v_and_b32_e32 v4, 0x7fffff, v0
	s_waitcnt_vscnt null, 0x0
	global_store_dwordx2 v[2:3], v[0:1], off
	v_readfirstlane_b32 m0, v4
	s_sendmsg sendmsg(MSG_INTERRUPT)
.LBB6_255:
	s_or_b32 exec_lo, exec_lo, s5
	s_branch .LBB6_259
	.p2align	6
.LBB6_256:                              ;   in Loop: Header=BB6_259 Depth=1
	s_or_b32 exec_lo, exec_lo, s5
	v_readfirstlane_b32 s5, v0
	s_cmp_eq_u32 s5, 0
	s_cbranch_scc1 .LBB6_258
; %bb.257:                              ;   in Loop: Header=BB6_259 Depth=1
	s_sleep 1
	s_cbranch_execnz .LBB6_259
	s_branch .LBB6_261
.LBB6_258:
	s_branch .LBB6_261
.LBB6_259:                              ; =>This Inner Loop Header: Depth=1
	v_mov_b32_e32 v0, 1
	s_and_saveexec_b32 s5, s4
	s_cbranch_execz .LBB6_256
; %bb.260:                              ;   in Loop: Header=BB6_259 Depth=1
	global_load_dword v0, v[8:9], off offset:20 glc dlc
	s_waitcnt vmcnt(0)
	buffer_gl1_inv
	buffer_gl0_inv
	v_and_b32_e32 v0, 1, v0
	s_branch .LBB6_256
.LBB6_261:
	s_and_saveexec_b32 s5, s4
	s_cbranch_execz .LBB6_265
; %bb.262:
	v_mov_b32_e32 v6, 0
	s_clause 0x2
	global_load_dwordx2 v[2:3], v6, s[38:39] offset:40
	global_load_dwordx2 v[7:8], v6, s[38:39] offset:24 glc dlc
	global_load_dwordx2 v[4:5], v6, s[38:39]
	s_waitcnt vmcnt(2)
	v_add_co_u32 v9, vcc_lo, v2, 1
	v_add_co_ci_u32_e32 v10, vcc_lo, 0, v3, vcc_lo
	v_add_co_u32 v0, vcc_lo, v9, s6
	v_add_co_ci_u32_e32 v1, vcc_lo, s7, v10, vcc_lo
	v_cmp_eq_u64_e32 vcc_lo, 0, v[0:1]
	v_cndmask_b32_e32 v1, v1, v10, vcc_lo
	v_cndmask_b32_e32 v0, v0, v9, vcc_lo
	v_and_b32_e32 v3, v1, v3
	v_and_b32_e32 v2, v0, v2
	v_mul_lo_u32 v3, v3, 24
	v_mul_hi_u32 v9, v2, 24
	v_mul_lo_u32 v2, v2, 24
	v_add_nc_u32_e32 v3, v9, v3
	s_waitcnt vmcnt(0)
	v_add_co_u32 v4, vcc_lo, v4, v2
	v_mov_b32_e32 v2, v7
	v_add_co_ci_u32_e32 v5, vcc_lo, v5, v3, vcc_lo
	v_mov_b32_e32 v3, v8
	global_store_dwordx2 v[4:5], v[7:8], off
	s_waitcnt_vscnt null, 0x0
	global_atomic_cmpswap_x2 v[2:3], v6, v[0:3], s[38:39] offset:24 glc
	s_waitcnt vmcnt(0)
	v_cmp_ne_u64_e32 vcc_lo, v[2:3], v[7:8]
	s_and_b32 exec_lo, exec_lo, vcc_lo
	s_cbranch_execz .LBB6_265
; %bb.263:
	s_mov_b32 s4, 0
.LBB6_264:                              ; =>This Inner Loop Header: Depth=1
	s_sleep 1
	global_store_dwordx2 v[4:5], v[2:3], off
	s_waitcnt_vscnt null, 0x0
	global_atomic_cmpswap_x2 v[7:8], v6, v[0:3], s[38:39] offset:24 glc
	s_waitcnt vmcnt(0)
	v_cmp_eq_u64_e32 vcc_lo, v[7:8], v[2:3]
	v_mov_b32_e32 v2, v7
	v_mov_b32_e32 v3, v8
	s_or_b32 s4, vcc_lo, s4
	s_andn2_b32 exec_lo, exec_lo, s4
	s_cbranch_execnz .LBB6_264
.LBB6_265:
	s_or_b32 exec_lo, exec_lo, s5
.LBB6_266:
	v_readfirstlane_b32 s4, v42
	s_waitcnt vmcnt(0)
	v_mov_b32_e32 v6, 0
	v_mov_b32_e32 v7, 0
	v_cmp_eq_u32_e64 s4, s4, v42
	s_and_saveexec_b32 s5, s4
	s_cbranch_execz .LBB6_272
; %bb.267:
	v_mov_b32_e32 v0, 0
	s_mov_b32 s6, exec_lo
	global_load_dwordx2 v[3:4], v0, s[38:39] offset:24 glc dlc
	s_waitcnt vmcnt(0)
	buffer_gl1_inv
	buffer_gl0_inv
	s_clause 0x1
	global_load_dwordx2 v[1:2], v0, s[38:39] offset:40
	global_load_dwordx2 v[5:6], v0, s[38:39]
	s_waitcnt vmcnt(1)
	v_and_b32_e32 v2, v2, v4
	v_and_b32_e32 v1, v1, v3
	v_mul_lo_u32 v2, v2, 24
	v_mul_hi_u32 v7, v1, 24
	v_mul_lo_u32 v1, v1, 24
	v_add_nc_u32_e32 v2, v7, v2
	s_waitcnt vmcnt(0)
	v_add_co_u32 v1, vcc_lo, v5, v1
	v_add_co_ci_u32_e32 v2, vcc_lo, v6, v2, vcc_lo
	global_load_dwordx2 v[1:2], v[1:2], off glc dlc
	s_waitcnt vmcnt(0)
	global_atomic_cmpswap_x2 v[6:7], v0, v[1:4], s[38:39] offset:24 glc
	s_waitcnt vmcnt(0)
	buffer_gl1_inv
	buffer_gl0_inv
	v_cmpx_ne_u64_e64 v[6:7], v[3:4]
	s_cbranch_execz .LBB6_271
; %bb.268:
	s_mov_b32 s7, 0
.LBB6_269:                              ; =>This Inner Loop Header: Depth=1
	s_sleep 1
	s_clause 0x1
	global_load_dwordx2 v[1:2], v0, s[38:39] offset:40
	global_load_dwordx2 v[8:9], v0, s[38:39]
	v_mov_b32_e32 v3, v6
	v_mov_b32_e32 v4, v7
	s_waitcnt vmcnt(1)
	v_and_b32_e32 v1, v1, v3
	v_and_b32_e32 v2, v2, v4
	s_waitcnt vmcnt(0)
	v_mad_u64_u32 v[5:6], null, v1, 24, v[8:9]
	v_mov_b32_e32 v1, v6
	v_mad_u64_u32 v[1:2], null, v2, 24, v[1:2]
	v_mov_b32_e32 v6, v1
	global_load_dwordx2 v[1:2], v[5:6], off glc dlc
	s_waitcnt vmcnt(0)
	global_atomic_cmpswap_x2 v[6:7], v0, v[1:4], s[38:39] offset:24 glc
	s_waitcnt vmcnt(0)
	buffer_gl1_inv
	buffer_gl0_inv
	v_cmp_eq_u64_e32 vcc_lo, v[6:7], v[3:4]
	s_or_b32 s7, vcc_lo, s7
	s_andn2_b32 exec_lo, exec_lo, s7
	s_cbranch_execnz .LBB6_269
; %bb.270:
	s_or_b32 exec_lo, exec_lo, s7
.LBB6_271:
	s_or_b32 exec_lo, exec_lo, s6
.LBB6_272:
	s_or_b32 exec_lo, exec_lo, s5
	v_mov_b32_e32 v5, 0
	v_readfirstlane_b32 s6, v6
	v_readfirstlane_b32 s7, v7
	s_mov_b32 s5, exec_lo
	s_clause 0x1
	global_load_dwordx2 v[8:9], v5, s[38:39] offset:40
	global_load_dwordx4 v[0:3], v5, s[38:39]
	s_waitcnt vmcnt(1)
	v_readfirstlane_b32 s8, v8
	v_readfirstlane_b32 s9, v9
	s_and_b64 s[8:9], s[6:7], s[8:9]
	s_mul_i32 s10, s9, 24
	s_mul_hi_u32 s11, s8, 24
	s_mul_i32 s12, s8, 24
	s_add_i32 s11, s11, s10
	s_waitcnt vmcnt(0)
	v_add_co_u32 v8, vcc_lo, v0, s12
	v_add_co_ci_u32_e32 v9, vcc_lo, s11, v1, vcc_lo
	s_and_saveexec_b32 s10, s4
	s_cbranch_execz .LBB6_274
; %bb.273:
	v_mov_b32_e32 v4, s5
	v_mov_b32_e32 v6, 2
	;; [unrolled: 1-line block ×3, first 2 shown]
	global_store_dwordx4 v[8:9], v[4:7], off offset:8
.LBB6_274:
	s_or_b32 exec_lo, exec_lo, s10
	s_lshl_b64 s[8:9], s[8:9], 12
	v_mov_b32_e32 v4, 33
	v_add_co_u32 v2, vcc_lo, v2, s8
	v_add_co_ci_u32_e32 v3, vcc_lo, s9, v3, vcc_lo
	s_mov_b32 s8, 0
	v_add_co_u32 v10, vcc_lo, v2, v41
	s_mov_b32 s11, s8
	s_mov_b32 s9, s8
	;; [unrolled: 1-line block ×3, first 2 shown]
	v_mov_b32_e32 v6, v5
	v_mov_b32_e32 v7, v5
	v_readfirstlane_b32 s12, v2
	v_readfirstlane_b32 s13, v3
	v_mov_b32_e32 v15, s11
	v_add_co_ci_u32_e32 v11, vcc_lo, 0, v3, vcc_lo
	v_mov_b32_e32 v14, s10
	v_mov_b32_e32 v13, s9
	;; [unrolled: 1-line block ×3, first 2 shown]
	global_store_dwordx4 v41, v[4:7], s[12:13]
	global_store_dwordx4 v41, v[12:15], s[12:13] offset:16
	global_store_dwordx4 v41, v[12:15], s[12:13] offset:32
	;; [unrolled: 1-line block ×3, first 2 shown]
	s_and_saveexec_b32 s5, s4
	s_cbranch_execz .LBB6_282
; %bb.275:
	v_mov_b32_e32 v6, 0
	v_mov_b32_e32 v12, s6
	;; [unrolled: 1-line block ×3, first 2 shown]
	s_clause 0x1
	global_load_dwordx2 v[14:15], v6, s[38:39] offset:32 glc dlc
	global_load_dwordx2 v[2:3], v6, s[38:39] offset:40
	s_waitcnt vmcnt(0)
	v_readfirstlane_b32 s8, v2
	v_readfirstlane_b32 s9, v3
	s_and_b64 s[8:9], s[8:9], s[6:7]
	s_mul_i32 s9, s9, 24
	s_mul_hi_u32 s10, s8, 24
	s_mul_i32 s8, s8, 24
	s_add_i32 s10, s10, s9
	v_add_co_u32 v4, vcc_lo, v0, s8
	v_add_co_ci_u32_e32 v5, vcc_lo, s10, v1, vcc_lo
	s_mov_b32 s8, exec_lo
	global_store_dwordx2 v[4:5], v[14:15], off
	s_waitcnt_vscnt null, 0x0
	global_atomic_cmpswap_x2 v[2:3], v6, v[12:15], s[38:39] offset:32 glc
	s_waitcnt vmcnt(0)
	v_cmpx_ne_u64_e64 v[2:3], v[14:15]
	s_cbranch_execz .LBB6_278
; %bb.276:
	s_mov_b32 s9, 0
.LBB6_277:                              ; =>This Inner Loop Header: Depth=1
	v_mov_b32_e32 v0, s6
	v_mov_b32_e32 v1, s7
	s_sleep 1
	global_store_dwordx2 v[4:5], v[2:3], off
	s_waitcnt_vscnt null, 0x0
	global_atomic_cmpswap_x2 v[0:1], v6, v[0:3], s[38:39] offset:32 glc
	s_waitcnt vmcnt(0)
	v_cmp_eq_u64_e32 vcc_lo, v[0:1], v[2:3]
	v_mov_b32_e32 v3, v1
	v_mov_b32_e32 v2, v0
	s_or_b32 s9, vcc_lo, s9
	s_andn2_b32 exec_lo, exec_lo, s9
	s_cbranch_execnz .LBB6_277
.LBB6_278:
	s_or_b32 exec_lo, exec_lo, s8
	v_mov_b32_e32 v3, 0
	s_mov_b32 s9, exec_lo
	s_mov_b32 s8, exec_lo
	v_mbcnt_lo_u32_b32 v2, s9, 0
	global_load_dwordx2 v[0:1], v3, s[38:39] offset:16
	v_cmpx_eq_u32_e32 0, v2
	s_cbranch_execz .LBB6_280
; %bb.279:
	s_bcnt1_i32_b32 s9, s9
	v_mov_b32_e32 v2, s9
	s_waitcnt vmcnt(0)
	global_atomic_add_x2 v[0:1], v[2:3], off offset:8
.LBB6_280:
	s_or_b32 exec_lo, exec_lo, s8
	s_waitcnt vmcnt(0)
	global_load_dwordx2 v[2:3], v[0:1], off offset:16
	s_waitcnt vmcnt(0)
	v_cmp_eq_u64_e32 vcc_lo, 0, v[2:3]
	s_cbranch_vccnz .LBB6_282
; %bb.281:
	global_load_dword v0, v[0:1], off offset:24
	v_mov_b32_e32 v1, 0
	s_waitcnt vmcnt(0)
	v_and_b32_e32 v4, 0x7fffff, v0
	s_waitcnt_vscnt null, 0x0
	global_store_dwordx2 v[2:3], v[0:1], off
	v_readfirstlane_b32 m0, v4
	s_sendmsg sendmsg(MSG_INTERRUPT)
.LBB6_282:
	s_or_b32 exec_lo, exec_lo, s5
	s_branch .LBB6_286
	.p2align	6
.LBB6_283:                              ;   in Loop: Header=BB6_286 Depth=1
	s_or_b32 exec_lo, exec_lo, s5
	v_readfirstlane_b32 s5, v0
	s_cmp_eq_u32 s5, 0
	s_cbranch_scc1 .LBB6_285
; %bb.284:                              ;   in Loop: Header=BB6_286 Depth=1
	s_sleep 1
	s_cbranch_execnz .LBB6_286
	s_branch .LBB6_288
	.p2align	6
.LBB6_285:
	s_branch .LBB6_288
.LBB6_286:                              ; =>This Inner Loop Header: Depth=1
	v_mov_b32_e32 v0, 1
	s_and_saveexec_b32 s5, s4
	s_cbranch_execz .LBB6_283
; %bb.287:                              ;   in Loop: Header=BB6_286 Depth=1
	global_load_dword v0, v[8:9], off offset:20 glc dlc
	s_waitcnt vmcnt(0)
	buffer_gl1_inv
	buffer_gl0_inv
	v_and_b32_e32 v0, 1, v0
	s_branch .LBB6_283
.LBB6_288:
	global_load_dwordx2 v[0:1], v[10:11], off
	s_and_saveexec_b32 s5, s4
	s_cbranch_execz .LBB6_292
; %bb.289:
	v_mov_b32_e32 v8, 0
	s_clause 0x2
	global_load_dwordx2 v[4:5], v8, s[38:39] offset:40
	global_load_dwordx2 v[9:10], v8, s[38:39] offset:24 glc dlc
	global_load_dwordx2 v[6:7], v8, s[38:39]
	s_waitcnt vmcnt(2)
	v_add_co_u32 v11, vcc_lo, v4, 1
	v_add_co_ci_u32_e32 v12, vcc_lo, 0, v5, vcc_lo
	v_add_co_u32 v2, vcc_lo, v11, s6
	v_add_co_ci_u32_e32 v3, vcc_lo, s7, v12, vcc_lo
	v_cmp_eq_u64_e32 vcc_lo, 0, v[2:3]
	v_cndmask_b32_e32 v3, v3, v12, vcc_lo
	v_cndmask_b32_e32 v2, v2, v11, vcc_lo
	v_and_b32_e32 v5, v3, v5
	v_and_b32_e32 v4, v2, v4
	v_mul_lo_u32 v5, v5, 24
	v_mul_hi_u32 v11, v4, 24
	v_mul_lo_u32 v4, v4, 24
	v_add_nc_u32_e32 v5, v11, v5
	s_waitcnt vmcnt(0)
	v_add_co_u32 v6, vcc_lo, v6, v4
	v_mov_b32_e32 v4, v9
	v_add_co_ci_u32_e32 v7, vcc_lo, v7, v5, vcc_lo
	v_mov_b32_e32 v5, v10
	global_store_dwordx2 v[6:7], v[9:10], off
	s_waitcnt_vscnt null, 0x0
	global_atomic_cmpswap_x2 v[4:5], v8, v[2:5], s[38:39] offset:24 glc
	s_waitcnt vmcnt(0)
	v_cmp_ne_u64_e32 vcc_lo, v[4:5], v[9:10]
	s_and_b32 exec_lo, exec_lo, vcc_lo
	s_cbranch_execz .LBB6_292
; %bb.290:
	s_mov_b32 s4, 0
.LBB6_291:                              ; =>This Inner Loop Header: Depth=1
	s_sleep 1
	global_store_dwordx2 v[6:7], v[4:5], off
	s_waitcnt_vscnt null, 0x0
	global_atomic_cmpswap_x2 v[9:10], v8, v[2:5], s[38:39] offset:24 glc
	s_waitcnt vmcnt(0)
	v_cmp_eq_u64_e32 vcc_lo, v[9:10], v[4:5]
	v_mov_b32_e32 v4, v9
	v_mov_b32_e32 v5, v10
	s_or_b32 s4, vcc_lo, s4
	s_andn2_b32 exec_lo, exec_lo, s4
	s_cbranch_execnz .LBB6_291
.LBB6_292:
	s_or_b32 exec_lo, exec_lo, s5
	s_getpc_b64 s[6:7]
	s_add_u32 s6, s6, .str.9@rel32@lo+4
	s_addc_u32 s7, s7, .str.9@rel32@hi+12
	s_cmp_lg_u64 s[6:7], 0
	s_cselect_b32 s42, -1, 0
	s_and_b32 vcc_lo, exec_lo, s42
	s_cbranch_vccz .LBB6_371
; %bb.293:
	s_waitcnt vmcnt(0)
	v_and_b32_e32 v31, 2, v0
	v_mov_b32_e32 v6, 0
	v_and_b32_e32 v2, -3, v0
	v_mov_b32_e32 v3, v1
	v_mov_b32_e32 v7, 2
	;; [unrolled: 1-line block ×3, first 2 shown]
	s_mov_b64 s[8:9], 3
	s_branch .LBB6_295
.LBB6_294:                              ;   in Loop: Header=BB6_295 Depth=1
	s_or_b32 exec_lo, exec_lo, s5
	s_sub_u32 s8, s8, s10
	s_subb_u32 s9, s9, s11
	s_add_u32 s6, s6, s10
	s_addc_u32 s7, s7, s11
	s_cmp_lg_u64 s[8:9], 0
	s_cbranch_scc0 .LBB6_370
.LBB6_295:                              ; =>This Loop Header: Depth=1
                                        ;     Child Loop BB6_304 Depth 2
                                        ;     Child Loop BB6_300 Depth 2
                                        ;     Child Loop BB6_312 Depth 2
                                        ;     Child Loop BB6_319 Depth 2
                                        ;     Child Loop BB6_326 Depth 2
                                        ;     Child Loop BB6_333 Depth 2
                                        ;     Child Loop BB6_340 Depth 2
                                        ;     Child Loop BB6_347 Depth 2
                                        ;     Child Loop BB6_355 Depth 2
                                        ;     Child Loop BB6_364 Depth 2
                                        ;     Child Loop BB6_369 Depth 2
	v_cmp_lt_u64_e64 s4, s[8:9], 56
	v_cmp_gt_u64_e64 s5, s[8:9], 7
                                        ; implicit-def: $vgpr11_vgpr12
                                        ; implicit-def: $sgpr17
	s_and_b32 s4, s4, exec_lo
	s_cselect_b32 s11, s9, 0
	s_cselect_b32 s10, s8, 56
	s_and_b32 vcc_lo, exec_lo, s5
	s_mov_b32 s4, -1
	s_cbranch_vccz .LBB6_302
; %bb.296:                              ;   in Loop: Header=BB6_295 Depth=1
	s_andn2_b32 vcc_lo, exec_lo, s4
	s_mov_b64 s[4:5], s[6:7]
	s_cbranch_vccz .LBB6_306
.LBB6_297:                              ;   in Loop: Header=BB6_295 Depth=1
	s_cmp_gt_u32 s17, 7
	s_cbranch_scc1 .LBB6_307
.LBB6_298:                              ;   in Loop: Header=BB6_295 Depth=1
	v_mov_b32_e32 v13, 0
	v_mov_b32_e32 v14, 0
	s_cmp_eq_u32 s17, 0
	s_cbranch_scc1 .LBB6_301
; %bb.299:                              ;   in Loop: Header=BB6_295 Depth=1
	s_mov_b64 s[12:13], 0
	s_mov_b64 s[14:15], 0
.LBB6_300:                              ;   Parent Loop BB6_295 Depth=1
                                        ; =>  This Inner Loop Header: Depth=2
	s_add_u32 s18, s4, s14
	s_addc_u32 s19, s5, s15
	s_add_u32 s14, s14, 1
	global_load_ubyte v4, v6, s[18:19]
	s_addc_u32 s15, s15, 0
	s_waitcnt vmcnt(0)
	v_and_b32_e32 v5, 0xffff, v4
	v_lshlrev_b64 v[4:5], s12, v[5:6]
	s_add_u32 s12, s12, 8
	s_addc_u32 s13, s13, 0
	s_cmp_lg_u32 s17, s14
	v_or_b32_e32 v13, v4, v13
	v_or_b32_e32 v14, v5, v14
	s_cbranch_scc1 .LBB6_300
.LBB6_301:                              ;   in Loop: Header=BB6_295 Depth=1
	s_mov_b32 s18, 0
	s_cbranch_execz .LBB6_308
	s_branch .LBB6_309
.LBB6_302:                              ;   in Loop: Header=BB6_295 Depth=1
	v_mov_b32_e32 v11, 0
	v_mov_b32_e32 v12, 0
	s_cmp_eq_u64 s[8:9], 0
	s_mov_b64 s[4:5], 0
	s_cbranch_scc1 .LBB6_305
; %bb.303:                              ;   in Loop: Header=BB6_295 Depth=1
	v_mov_b32_e32 v11, 0
	v_mov_b32_e32 v12, 0
	s_lshl_b64 s[12:13], s[10:11], 3
	s_mov_b64 s[14:15], s[6:7]
.LBB6_304:                              ;   Parent Loop BB6_295 Depth=1
                                        ; =>  This Inner Loop Header: Depth=2
	global_load_ubyte v4, v6, s[14:15]
	s_waitcnt vmcnt(0)
	v_and_b32_e32 v5, 0xffff, v4
	v_lshlrev_b64 v[4:5], s4, v[5:6]
	s_add_u32 s4, s4, 8
	s_addc_u32 s5, s5, 0
	s_add_u32 s14, s14, 1
	s_addc_u32 s15, s15, 0
	s_cmp_lg_u32 s12, s4
	v_or_b32_e32 v11, v4, v11
	v_or_b32_e32 v12, v5, v12
	s_cbranch_scc1 .LBB6_304
.LBB6_305:                              ;   in Loop: Header=BB6_295 Depth=1
	s_mov_b32 s17, 0
	s_mov_b64 s[4:5], s[6:7]
	s_cbranch_execnz .LBB6_297
.LBB6_306:                              ;   in Loop: Header=BB6_295 Depth=1
	global_load_dwordx2 v[11:12], v6, s[6:7]
	s_add_i32 s17, s10, -8
	s_add_u32 s4, s6, 8
	s_addc_u32 s5, s7, 0
	s_cmp_gt_u32 s17, 7
	s_cbranch_scc0 .LBB6_298
.LBB6_307:                              ;   in Loop: Header=BB6_295 Depth=1
                                        ; implicit-def: $vgpr13_vgpr14
                                        ; implicit-def: $sgpr18
.LBB6_308:                              ;   in Loop: Header=BB6_295 Depth=1
	global_load_dwordx2 v[13:14], v6, s[4:5]
	s_add_i32 s18, s17, -8
	s_add_u32 s4, s4, 8
	s_addc_u32 s5, s5, 0
.LBB6_309:                              ;   in Loop: Header=BB6_295 Depth=1
	s_cmp_gt_u32 s18, 7
	s_cbranch_scc1 .LBB6_314
; %bb.310:                              ;   in Loop: Header=BB6_295 Depth=1
	v_mov_b32_e32 v15, 0
	v_mov_b32_e32 v16, 0
	s_cmp_eq_u32 s18, 0
	s_cbranch_scc1 .LBB6_313
; %bb.311:                              ;   in Loop: Header=BB6_295 Depth=1
	s_mov_b64 s[12:13], 0
	s_mov_b64 s[14:15], 0
.LBB6_312:                              ;   Parent Loop BB6_295 Depth=1
                                        ; =>  This Inner Loop Header: Depth=2
	s_add_u32 s20, s4, s14
	s_addc_u32 s21, s5, s15
	s_add_u32 s14, s14, 1
	global_load_ubyte v4, v6, s[20:21]
	s_addc_u32 s15, s15, 0
	s_waitcnt vmcnt(0)
	v_and_b32_e32 v5, 0xffff, v4
	v_lshlrev_b64 v[4:5], s12, v[5:6]
	s_add_u32 s12, s12, 8
	s_addc_u32 s13, s13, 0
	s_cmp_lg_u32 s18, s14
	v_or_b32_e32 v15, v4, v15
	v_or_b32_e32 v16, v5, v16
	s_cbranch_scc1 .LBB6_312
.LBB6_313:                              ;   in Loop: Header=BB6_295 Depth=1
	s_mov_b32 s17, 0
	s_cbranch_execz .LBB6_315
	s_branch .LBB6_316
.LBB6_314:                              ;   in Loop: Header=BB6_295 Depth=1
                                        ; implicit-def: $sgpr17
.LBB6_315:                              ;   in Loop: Header=BB6_295 Depth=1
	global_load_dwordx2 v[15:16], v6, s[4:5]
	s_add_i32 s17, s18, -8
	s_add_u32 s4, s4, 8
	s_addc_u32 s5, s5, 0
.LBB6_316:                              ;   in Loop: Header=BB6_295 Depth=1
	s_cmp_gt_u32 s17, 7
	s_cbranch_scc1 .LBB6_321
; %bb.317:                              ;   in Loop: Header=BB6_295 Depth=1
	v_mov_b32_e32 v17, 0
	v_mov_b32_e32 v18, 0
	s_cmp_eq_u32 s17, 0
	s_cbranch_scc1 .LBB6_320
; %bb.318:                              ;   in Loop: Header=BB6_295 Depth=1
	s_mov_b64 s[12:13], 0
	s_mov_b64 s[14:15], 0
.LBB6_319:                              ;   Parent Loop BB6_295 Depth=1
                                        ; =>  This Inner Loop Header: Depth=2
	s_add_u32 s18, s4, s14
	s_addc_u32 s19, s5, s15
	s_add_u32 s14, s14, 1
	global_load_ubyte v4, v6, s[18:19]
	s_addc_u32 s15, s15, 0
	s_waitcnt vmcnt(0)
	v_and_b32_e32 v5, 0xffff, v4
	v_lshlrev_b64 v[4:5], s12, v[5:6]
	s_add_u32 s12, s12, 8
	s_addc_u32 s13, s13, 0
	s_cmp_lg_u32 s17, s14
	v_or_b32_e32 v17, v4, v17
	v_or_b32_e32 v18, v5, v18
	s_cbranch_scc1 .LBB6_319
.LBB6_320:                              ;   in Loop: Header=BB6_295 Depth=1
	s_mov_b32 s18, 0
	s_cbranch_execz .LBB6_322
	s_branch .LBB6_323
.LBB6_321:                              ;   in Loop: Header=BB6_295 Depth=1
                                        ; implicit-def: $vgpr17_vgpr18
                                        ; implicit-def: $sgpr18
.LBB6_322:                              ;   in Loop: Header=BB6_295 Depth=1
	global_load_dwordx2 v[17:18], v6, s[4:5]
	s_add_i32 s18, s17, -8
	s_add_u32 s4, s4, 8
	s_addc_u32 s5, s5, 0
.LBB6_323:                              ;   in Loop: Header=BB6_295 Depth=1
	s_cmp_gt_u32 s18, 7
	s_cbranch_scc1 .LBB6_328
; %bb.324:                              ;   in Loop: Header=BB6_295 Depth=1
	v_mov_b32_e32 v19, 0
	v_mov_b32_e32 v20, 0
	s_cmp_eq_u32 s18, 0
	s_cbranch_scc1 .LBB6_327
; %bb.325:                              ;   in Loop: Header=BB6_295 Depth=1
	s_mov_b64 s[12:13], 0
	s_mov_b64 s[14:15], 0
.LBB6_326:                              ;   Parent Loop BB6_295 Depth=1
                                        ; =>  This Inner Loop Header: Depth=2
	s_add_u32 s20, s4, s14
	s_addc_u32 s21, s5, s15
	s_add_u32 s14, s14, 1
	global_load_ubyte v4, v6, s[20:21]
	s_addc_u32 s15, s15, 0
	s_waitcnt vmcnt(0)
	v_and_b32_e32 v5, 0xffff, v4
	v_lshlrev_b64 v[4:5], s12, v[5:6]
	s_add_u32 s12, s12, 8
	s_addc_u32 s13, s13, 0
	s_cmp_lg_u32 s18, s14
	v_or_b32_e32 v19, v4, v19
	v_or_b32_e32 v20, v5, v20
	s_cbranch_scc1 .LBB6_326
.LBB6_327:                              ;   in Loop: Header=BB6_295 Depth=1
	s_mov_b32 s17, 0
	s_cbranch_execz .LBB6_329
	s_branch .LBB6_330
.LBB6_328:                              ;   in Loop: Header=BB6_295 Depth=1
                                        ; implicit-def: $sgpr17
.LBB6_329:                              ;   in Loop: Header=BB6_295 Depth=1
	global_load_dwordx2 v[19:20], v6, s[4:5]
	s_add_i32 s17, s18, -8
	s_add_u32 s4, s4, 8
	s_addc_u32 s5, s5, 0
.LBB6_330:                              ;   in Loop: Header=BB6_295 Depth=1
	s_cmp_gt_u32 s17, 7
	s_cbranch_scc1 .LBB6_335
; %bb.331:                              ;   in Loop: Header=BB6_295 Depth=1
	v_mov_b32_e32 v21, 0
	v_mov_b32_e32 v22, 0
	s_cmp_eq_u32 s17, 0
	s_cbranch_scc1 .LBB6_334
; %bb.332:                              ;   in Loop: Header=BB6_295 Depth=1
	s_mov_b64 s[12:13], 0
	s_mov_b64 s[14:15], 0
.LBB6_333:                              ;   Parent Loop BB6_295 Depth=1
                                        ; =>  This Inner Loop Header: Depth=2
	s_add_u32 s18, s4, s14
	s_addc_u32 s19, s5, s15
	s_add_u32 s14, s14, 1
	global_load_ubyte v4, v6, s[18:19]
	s_addc_u32 s15, s15, 0
	s_waitcnt vmcnt(0)
	v_and_b32_e32 v5, 0xffff, v4
	v_lshlrev_b64 v[4:5], s12, v[5:6]
	s_add_u32 s12, s12, 8
	s_addc_u32 s13, s13, 0
	s_cmp_lg_u32 s17, s14
	v_or_b32_e32 v21, v4, v21
	v_or_b32_e32 v22, v5, v22
	s_cbranch_scc1 .LBB6_333
.LBB6_334:                              ;   in Loop: Header=BB6_295 Depth=1
	s_mov_b32 s18, 0
	s_cbranch_execz .LBB6_336
	s_branch .LBB6_337
.LBB6_335:                              ;   in Loop: Header=BB6_295 Depth=1
                                        ; implicit-def: $vgpr21_vgpr22
                                        ; implicit-def: $sgpr18
.LBB6_336:                              ;   in Loop: Header=BB6_295 Depth=1
	global_load_dwordx2 v[21:22], v6, s[4:5]
	s_add_i32 s18, s17, -8
	s_add_u32 s4, s4, 8
	s_addc_u32 s5, s5, 0
.LBB6_337:                              ;   in Loop: Header=BB6_295 Depth=1
	s_cmp_gt_u32 s18, 7
	s_cbranch_scc1 .LBB6_342
; %bb.338:                              ;   in Loop: Header=BB6_295 Depth=1
	v_mov_b32_e32 v23, 0
	v_mov_b32_e32 v24, 0
	s_cmp_eq_u32 s18, 0
	s_cbranch_scc1 .LBB6_341
; %bb.339:                              ;   in Loop: Header=BB6_295 Depth=1
	s_mov_b64 s[12:13], 0
	s_mov_b64 s[14:15], s[4:5]
.LBB6_340:                              ;   Parent Loop BB6_295 Depth=1
                                        ; =>  This Inner Loop Header: Depth=2
	global_load_ubyte v4, v6, s[14:15]
	s_add_i32 s18, s18, -1
	s_waitcnt vmcnt(0)
	v_and_b32_e32 v5, 0xffff, v4
	v_lshlrev_b64 v[4:5], s12, v[5:6]
	s_add_u32 s12, s12, 8
	s_addc_u32 s13, s13, 0
	s_add_u32 s14, s14, 1
	s_addc_u32 s15, s15, 0
	s_cmp_lg_u32 s18, 0
	v_or_b32_e32 v23, v4, v23
	v_or_b32_e32 v24, v5, v24
	s_cbranch_scc1 .LBB6_340
.LBB6_341:                              ;   in Loop: Header=BB6_295 Depth=1
	s_cbranch_execz .LBB6_343
	s_branch .LBB6_344
.LBB6_342:                              ;   in Loop: Header=BB6_295 Depth=1
.LBB6_343:                              ;   in Loop: Header=BB6_295 Depth=1
	global_load_dwordx2 v[23:24], v6, s[4:5]
.LBB6_344:                              ;   in Loop: Header=BB6_295 Depth=1
	v_readfirstlane_b32 s4, v42
	s_waitcnt vmcnt(0)
	v_mov_b32_e32 v4, 0
	v_mov_b32_e32 v5, 0
	v_cmp_eq_u32_e64 s4, s4, v42
	s_and_saveexec_b32 s5, s4
	s_cbranch_execz .LBB6_350
; %bb.345:                              ;   in Loop: Header=BB6_295 Depth=1
	global_load_dwordx2 v[27:28], v6, s[38:39] offset:24 glc dlc
	s_waitcnt vmcnt(0)
	buffer_gl1_inv
	buffer_gl0_inv
	s_clause 0x1
	global_load_dwordx2 v[4:5], v6, s[38:39] offset:40
	global_load_dwordx2 v[9:10], v6, s[38:39]
	s_mov_b32 s12, exec_lo
	s_waitcnt vmcnt(1)
	v_and_b32_e32 v5, v5, v28
	v_and_b32_e32 v4, v4, v27
	v_mul_lo_u32 v5, v5, 24
	v_mul_hi_u32 v25, v4, 24
	v_mul_lo_u32 v4, v4, 24
	v_add_nc_u32_e32 v5, v25, v5
	s_waitcnt vmcnt(0)
	v_add_co_u32 v4, vcc_lo, v9, v4
	v_add_co_ci_u32_e32 v5, vcc_lo, v10, v5, vcc_lo
	global_load_dwordx2 v[25:26], v[4:5], off glc dlc
	s_waitcnt vmcnt(0)
	global_atomic_cmpswap_x2 v[4:5], v6, v[25:28], s[38:39] offset:24 glc
	s_waitcnt vmcnt(0)
	buffer_gl1_inv
	buffer_gl0_inv
	v_cmpx_ne_u64_e64 v[4:5], v[27:28]
	s_cbranch_execz .LBB6_349
; %bb.346:                              ;   in Loop: Header=BB6_295 Depth=1
	s_mov_b32 s13, 0
	.p2align	6
.LBB6_347:                              ;   Parent Loop BB6_295 Depth=1
                                        ; =>  This Inner Loop Header: Depth=2
	s_sleep 1
	s_clause 0x1
	global_load_dwordx2 v[9:10], v6, s[38:39] offset:40
	global_load_dwordx2 v[25:26], v6, s[38:39]
	v_mov_b32_e32 v28, v5
	v_mov_b32_e32 v27, v4
	s_waitcnt vmcnt(1)
	v_and_b32_e32 v4, v9, v27
	v_and_b32_e32 v9, v10, v28
	s_waitcnt vmcnt(0)
	v_mad_u64_u32 v[4:5], null, v4, 24, v[25:26]
	v_mad_u64_u32 v[9:10], null, v9, 24, v[5:6]
	v_mov_b32_e32 v5, v9
	global_load_dwordx2 v[25:26], v[4:5], off glc dlc
	s_waitcnt vmcnt(0)
	global_atomic_cmpswap_x2 v[4:5], v6, v[25:28], s[38:39] offset:24 glc
	s_waitcnt vmcnt(0)
	buffer_gl1_inv
	buffer_gl0_inv
	v_cmp_eq_u64_e32 vcc_lo, v[4:5], v[27:28]
	s_or_b32 s13, vcc_lo, s13
	s_andn2_b32 exec_lo, exec_lo, s13
	s_cbranch_execnz .LBB6_347
; %bb.348:                              ;   in Loop: Header=BB6_295 Depth=1
	s_or_b32 exec_lo, exec_lo, s13
.LBB6_349:                              ;   in Loop: Header=BB6_295 Depth=1
	s_or_b32 exec_lo, exec_lo, s12
.LBB6_350:                              ;   in Loop: Header=BB6_295 Depth=1
	s_or_b32 exec_lo, exec_lo, s5
	s_clause 0x1
	global_load_dwordx2 v[9:10], v6, s[38:39] offset:40
	global_load_dwordx4 v[25:28], v6, s[38:39]
	v_readfirstlane_b32 s12, v4
	v_readfirstlane_b32 s13, v5
	s_mov_b32 s5, exec_lo
	s_waitcnt vmcnt(1)
	v_readfirstlane_b32 s14, v9
	v_readfirstlane_b32 s15, v10
	s_and_b64 s[14:15], s[12:13], s[14:15]
	s_mul_i32 s17, s15, 24
	s_mul_hi_u32 s18, s14, 24
	s_mul_i32 s19, s14, 24
	s_add_i32 s18, s18, s17
	s_waitcnt vmcnt(0)
	v_add_co_u32 v29, vcc_lo, v25, s19
	v_add_co_ci_u32_e32 v30, vcc_lo, s18, v26, vcc_lo
	s_and_saveexec_b32 s17, s4
	s_cbranch_execz .LBB6_352
; %bb.351:                              ;   in Loop: Header=BB6_295 Depth=1
	v_mov_b32_e32 v5, s5
	global_store_dwordx4 v[29:30], v[5:8], off offset:8
.LBB6_352:                              ;   in Loop: Header=BB6_295 Depth=1
	s_or_b32 exec_lo, exec_lo, s17
	s_lshl_b64 s[14:15], s[14:15], 12
	v_cmp_gt_u64_e64 vcc_lo, s[8:9], 56
	v_or_b32_e32 v5, v2, v31
	v_add_co_u32 v27, s5, v27, s14
	v_add_co_ci_u32_e64 v28, s5, s15, v28, s5
	s_lshl_b32 s5, s10, 2
	v_or_b32_e32 v4, 0, v3
	v_cndmask_b32_e32 v2, v5, v2, vcc_lo
	s_add_i32 s5, s5, 28
	v_readfirstlane_b32 s14, v27
	s_and_b32 s5, s5, 0x1e0
	v_cndmask_b32_e32 v10, v4, v3, vcc_lo
	v_readfirstlane_b32 s15, v28
	v_and_or_b32 v9, 0xffffff1f, v2, s5
	global_store_dwordx4 v41, v[9:12], s[14:15]
	global_store_dwordx4 v41, v[13:16], s[14:15] offset:16
	global_store_dwordx4 v41, v[17:20], s[14:15] offset:32
	;; [unrolled: 1-line block ×3, first 2 shown]
	s_and_saveexec_b32 s5, s4
	s_cbranch_execz .LBB6_360
; %bb.353:                              ;   in Loop: Header=BB6_295 Depth=1
	s_clause 0x1
	global_load_dwordx2 v[13:14], v6, s[38:39] offset:32 glc dlc
	global_load_dwordx2 v[2:3], v6, s[38:39] offset:40
	v_mov_b32_e32 v11, s12
	v_mov_b32_e32 v12, s13
	s_waitcnt vmcnt(0)
	v_readfirstlane_b32 s14, v2
	v_readfirstlane_b32 s15, v3
	s_and_b64 s[14:15], s[14:15], s[12:13]
	s_mul_i32 s15, s15, 24
	s_mul_hi_u32 s17, s14, 24
	s_mul_i32 s14, s14, 24
	s_add_i32 s17, s17, s15
	v_add_co_u32 v9, vcc_lo, v25, s14
	v_add_co_ci_u32_e32 v10, vcc_lo, s17, v26, vcc_lo
	s_mov_b32 s14, exec_lo
	global_store_dwordx2 v[9:10], v[13:14], off
	s_waitcnt_vscnt null, 0x0
	global_atomic_cmpswap_x2 v[4:5], v6, v[11:14], s[38:39] offset:32 glc
	s_waitcnt vmcnt(0)
	v_cmpx_ne_u64_e64 v[4:5], v[13:14]
	s_cbranch_execz .LBB6_356
; %bb.354:                              ;   in Loop: Header=BB6_295 Depth=1
	s_mov_b32 s15, 0
.LBB6_355:                              ;   Parent Loop BB6_295 Depth=1
                                        ; =>  This Inner Loop Header: Depth=2
	v_mov_b32_e32 v2, s12
	v_mov_b32_e32 v3, s13
	s_sleep 1
	global_store_dwordx2 v[9:10], v[4:5], off
	s_waitcnt_vscnt null, 0x0
	global_atomic_cmpswap_x2 v[2:3], v6, v[2:5], s[38:39] offset:32 glc
	s_waitcnt vmcnt(0)
	v_cmp_eq_u64_e32 vcc_lo, v[2:3], v[4:5]
	v_mov_b32_e32 v5, v3
	v_mov_b32_e32 v4, v2
	s_or_b32 s15, vcc_lo, s15
	s_andn2_b32 exec_lo, exec_lo, s15
	s_cbranch_execnz .LBB6_355
.LBB6_356:                              ;   in Loop: Header=BB6_295 Depth=1
	s_or_b32 exec_lo, exec_lo, s14
	global_load_dwordx2 v[2:3], v6, s[38:39] offset:16
	s_mov_b32 s15, exec_lo
	s_mov_b32 s14, exec_lo
	v_mbcnt_lo_u32_b32 v4, s15, 0
	v_cmpx_eq_u32_e32 0, v4
	s_cbranch_execz .LBB6_358
; %bb.357:                              ;   in Loop: Header=BB6_295 Depth=1
	s_bcnt1_i32_b32 s15, s15
	v_mov_b32_e32 v5, s15
	s_waitcnt vmcnt(0)
	global_atomic_add_x2 v[2:3], v[5:6], off offset:8
.LBB6_358:                              ;   in Loop: Header=BB6_295 Depth=1
	s_or_b32 exec_lo, exec_lo, s14
	s_waitcnt vmcnt(0)
	global_load_dwordx2 v[9:10], v[2:3], off offset:16
	s_waitcnt vmcnt(0)
	v_cmp_eq_u64_e32 vcc_lo, 0, v[9:10]
	s_cbranch_vccnz .LBB6_360
; %bb.359:                              ;   in Loop: Header=BB6_295 Depth=1
	global_load_dword v5, v[2:3], off offset:24
	s_waitcnt vmcnt(0)
	v_and_b32_e32 v2, 0x7fffff, v5
	s_waitcnt_vscnt null, 0x0
	global_store_dwordx2 v[9:10], v[5:6], off
	v_readfirstlane_b32 m0, v2
	s_sendmsg sendmsg(MSG_INTERRUPT)
.LBB6_360:                              ;   in Loop: Header=BB6_295 Depth=1
	s_or_b32 exec_lo, exec_lo, s5
	v_add_co_u32 v2, vcc_lo, v27, v41
	v_add_co_ci_u32_e32 v3, vcc_lo, 0, v28, vcc_lo
	s_branch .LBB6_364
	.p2align	6
.LBB6_361:                              ;   in Loop: Header=BB6_364 Depth=2
	s_or_b32 exec_lo, exec_lo, s5
	v_readfirstlane_b32 s5, v4
	s_cmp_eq_u32 s5, 0
	s_cbranch_scc1 .LBB6_363
; %bb.362:                              ;   in Loop: Header=BB6_364 Depth=2
	s_sleep 1
	s_cbranch_execnz .LBB6_364
	s_branch .LBB6_366
	.p2align	6
.LBB6_363:                              ;   in Loop: Header=BB6_295 Depth=1
	s_branch .LBB6_366
.LBB6_364:                              ;   Parent Loop BB6_295 Depth=1
                                        ; =>  This Inner Loop Header: Depth=2
	v_mov_b32_e32 v4, 1
	s_and_saveexec_b32 s5, s4
	s_cbranch_execz .LBB6_361
; %bb.365:                              ;   in Loop: Header=BB6_364 Depth=2
	global_load_dword v4, v[29:30], off offset:20 glc dlc
	s_waitcnt vmcnt(0)
	buffer_gl1_inv
	buffer_gl0_inv
	v_and_b32_e32 v4, 1, v4
	s_branch .LBB6_361
.LBB6_366:                              ;   in Loop: Header=BB6_295 Depth=1
	global_load_dwordx4 v[2:5], v[2:3], off
	s_and_saveexec_b32 s5, s4
	s_cbranch_execz .LBB6_294
; %bb.367:                              ;   in Loop: Header=BB6_295 Depth=1
	s_clause 0x2
	global_load_dwordx2 v[4:5], v6, s[38:39] offset:40
	global_load_dwordx2 v[13:14], v6, s[38:39] offset:24 glc dlc
	global_load_dwordx2 v[11:12], v6, s[38:39]
	s_waitcnt vmcnt(2)
	v_add_co_u32 v15, vcc_lo, v4, 1
	v_add_co_ci_u32_e32 v16, vcc_lo, 0, v5, vcc_lo
	v_add_co_u32 v9, vcc_lo, v15, s12
	v_add_co_ci_u32_e32 v10, vcc_lo, s13, v16, vcc_lo
	v_cmp_eq_u64_e32 vcc_lo, 0, v[9:10]
	v_cndmask_b32_e32 v10, v10, v16, vcc_lo
	v_cndmask_b32_e32 v9, v9, v15, vcc_lo
	v_and_b32_e32 v5, v10, v5
	v_and_b32_e32 v4, v9, v4
	v_mul_lo_u32 v5, v5, 24
	v_mul_hi_u32 v15, v4, 24
	v_mul_lo_u32 v4, v4, 24
	v_add_nc_u32_e32 v5, v15, v5
	s_waitcnt vmcnt(0)
	v_add_co_u32 v4, vcc_lo, v11, v4
	v_mov_b32_e32 v11, v13
	v_add_co_ci_u32_e32 v5, vcc_lo, v12, v5, vcc_lo
	v_mov_b32_e32 v12, v14
	global_store_dwordx2 v[4:5], v[13:14], off
	s_waitcnt_vscnt null, 0x0
	global_atomic_cmpswap_x2 v[11:12], v6, v[9:12], s[38:39] offset:24 glc
	s_waitcnt vmcnt(0)
	v_cmp_ne_u64_e32 vcc_lo, v[11:12], v[13:14]
	s_and_b32 exec_lo, exec_lo, vcc_lo
	s_cbranch_execz .LBB6_294
; %bb.368:                              ;   in Loop: Header=BB6_295 Depth=1
	s_mov_b32 s4, 0
.LBB6_369:                              ;   Parent Loop BB6_295 Depth=1
                                        ; =>  This Inner Loop Header: Depth=2
	s_sleep 1
	global_store_dwordx2 v[4:5], v[11:12], off
	s_waitcnt_vscnt null, 0x0
	global_atomic_cmpswap_x2 v[13:14], v6, v[9:12], s[38:39] offset:24 glc
	s_waitcnt vmcnt(0)
	v_cmp_eq_u64_e32 vcc_lo, v[13:14], v[11:12]
	v_mov_b32_e32 v11, v13
	v_mov_b32_e32 v12, v14
	s_or_b32 s4, vcc_lo, s4
	s_andn2_b32 exec_lo, exec_lo, s4
	s_cbranch_execnz .LBB6_369
	s_branch .LBB6_294
.LBB6_370:
	s_mov_b32 s4, 0
	s_branch .LBB6_372
.LBB6_371:
	s_mov_b32 s4, -1
                                        ; implicit-def: $vgpr2_vgpr3
.LBB6_372:
	s_and_b32 vcc_lo, exec_lo, s4
	s_cbranch_vccz .LBB6_400
; %bb.373:
	v_readfirstlane_b32 s4, v42
	v_mov_b32_e32 v8, 0
	v_mov_b32_e32 v9, 0
	v_cmp_eq_u32_e64 s4, s4, v42
	s_and_saveexec_b32 s5, s4
	s_cbranch_execz .LBB6_379
; %bb.374:
	s_waitcnt vmcnt(0)
	v_mov_b32_e32 v2, 0
	s_mov_b32 s6, exec_lo
	global_load_dwordx2 v[5:6], v2, s[38:39] offset:24 glc dlc
	s_waitcnt vmcnt(0)
	buffer_gl1_inv
	buffer_gl0_inv
	s_clause 0x1
	global_load_dwordx2 v[3:4], v2, s[38:39] offset:40
	global_load_dwordx2 v[7:8], v2, s[38:39]
	s_waitcnt vmcnt(1)
	v_and_b32_e32 v4, v4, v6
	v_and_b32_e32 v3, v3, v5
	v_mul_lo_u32 v4, v4, 24
	v_mul_hi_u32 v9, v3, 24
	v_mul_lo_u32 v3, v3, 24
	v_add_nc_u32_e32 v4, v9, v4
	s_waitcnt vmcnt(0)
	v_add_co_u32 v3, vcc_lo, v7, v3
	v_add_co_ci_u32_e32 v4, vcc_lo, v8, v4, vcc_lo
	global_load_dwordx2 v[3:4], v[3:4], off glc dlc
	s_waitcnt vmcnt(0)
	global_atomic_cmpswap_x2 v[8:9], v2, v[3:6], s[38:39] offset:24 glc
	s_waitcnt vmcnt(0)
	buffer_gl1_inv
	buffer_gl0_inv
	v_cmpx_ne_u64_e64 v[8:9], v[5:6]
	s_cbranch_execz .LBB6_378
; %bb.375:
	s_mov_b32 s7, 0
.LBB6_376:                              ; =>This Inner Loop Header: Depth=1
	s_sleep 1
	s_clause 0x1
	global_load_dwordx2 v[3:4], v2, s[38:39] offset:40
	global_load_dwordx2 v[10:11], v2, s[38:39]
	v_mov_b32_e32 v5, v8
	v_mov_b32_e32 v6, v9
	s_waitcnt vmcnt(1)
	v_and_b32_e32 v3, v3, v5
	v_and_b32_e32 v4, v4, v6
	s_waitcnt vmcnt(0)
	v_mad_u64_u32 v[7:8], null, v3, 24, v[10:11]
	v_mov_b32_e32 v3, v8
	v_mad_u64_u32 v[3:4], null, v4, 24, v[3:4]
	v_mov_b32_e32 v8, v3
	global_load_dwordx2 v[3:4], v[7:8], off glc dlc
	s_waitcnt vmcnt(0)
	global_atomic_cmpswap_x2 v[8:9], v2, v[3:6], s[38:39] offset:24 glc
	s_waitcnt vmcnt(0)
	buffer_gl1_inv
	buffer_gl0_inv
	v_cmp_eq_u64_e32 vcc_lo, v[8:9], v[5:6]
	s_or_b32 s7, vcc_lo, s7
	s_andn2_b32 exec_lo, exec_lo, s7
	s_cbranch_execnz .LBB6_376
; %bb.377:
	s_or_b32 exec_lo, exec_lo, s7
.LBB6_378:
	s_or_b32 exec_lo, exec_lo, s6
.LBB6_379:
	s_or_b32 exec_lo, exec_lo, s5
	s_waitcnt vmcnt(0)
	v_mov_b32_e32 v2, 0
	v_readfirstlane_b32 s6, v8
	v_readfirstlane_b32 s7, v9
	s_mov_b32 s5, exec_lo
	s_clause 0x1
	global_load_dwordx2 v[10:11], v2, s[38:39] offset:40
	global_load_dwordx4 v[4:7], v2, s[38:39]
	s_waitcnt vmcnt(1)
	v_readfirstlane_b32 s8, v10
	v_readfirstlane_b32 s9, v11
	s_and_b64 s[8:9], s[6:7], s[8:9]
	s_mul_i32 s10, s9, 24
	s_mul_hi_u32 s11, s8, 24
	s_mul_i32 s12, s8, 24
	s_add_i32 s11, s11, s10
	s_waitcnt vmcnt(0)
	v_add_co_u32 v8, vcc_lo, v4, s12
	v_add_co_ci_u32_e32 v9, vcc_lo, s11, v5, vcc_lo
	s_and_saveexec_b32 s10, s4
	s_cbranch_execz .LBB6_381
; %bb.380:
	v_mov_b32_e32 v10, s5
	v_mov_b32_e32 v11, v2
	;; [unrolled: 1-line block ×4, first 2 shown]
	global_store_dwordx4 v[8:9], v[10:13], off offset:8
.LBB6_381:
	s_or_b32 exec_lo, exec_lo, s10
	s_lshl_b64 s[8:9], s[8:9], 12
	v_and_or_b32 v0, 0xffffff1f, v0, 32
	v_add_co_u32 v6, vcc_lo, v6, s8
	v_add_co_ci_u32_e32 v7, vcc_lo, s9, v7, vcc_lo
	s_mov_b32 s8, 0
	v_readfirstlane_b32 s12, v6
	s_mov_b32 s11, s8
	v_add_co_u32 v6, vcc_lo, v6, v41
	s_mov_b32 s9, s8
	s_mov_b32 s10, s8
	v_mov_b32_e32 v3, v2
	v_readfirstlane_b32 s13, v7
	v_mov_b32_e32 v13, s11
	v_add_co_ci_u32_e32 v7, vcc_lo, 0, v7, vcc_lo
	v_mov_b32_e32 v12, s10
	v_mov_b32_e32 v11, s9
	;; [unrolled: 1-line block ×3, first 2 shown]
	global_store_dwordx4 v41, v[0:3], s[12:13]
	global_store_dwordx4 v41, v[10:13], s[12:13] offset:16
	global_store_dwordx4 v41, v[10:13], s[12:13] offset:32
	;; [unrolled: 1-line block ×3, first 2 shown]
	s_and_saveexec_b32 s5, s4
	s_cbranch_execz .LBB6_389
; %bb.382:
	v_mov_b32_e32 v10, 0
	v_mov_b32_e32 v11, s6
	;; [unrolled: 1-line block ×3, first 2 shown]
	s_clause 0x1
	global_load_dwordx2 v[13:14], v10, s[38:39] offset:32 glc dlc
	global_load_dwordx2 v[0:1], v10, s[38:39] offset:40
	s_waitcnt vmcnt(0)
	v_readfirstlane_b32 s8, v0
	v_readfirstlane_b32 s9, v1
	s_and_b64 s[8:9], s[8:9], s[6:7]
	s_mul_i32 s9, s9, 24
	s_mul_hi_u32 s10, s8, 24
	s_mul_i32 s8, s8, 24
	s_add_i32 s10, s10, s9
	v_add_co_u32 v4, vcc_lo, v4, s8
	v_add_co_ci_u32_e32 v5, vcc_lo, s10, v5, vcc_lo
	s_mov_b32 s8, exec_lo
	global_store_dwordx2 v[4:5], v[13:14], off
	s_waitcnt_vscnt null, 0x0
	global_atomic_cmpswap_x2 v[2:3], v10, v[11:14], s[38:39] offset:32 glc
	s_waitcnt vmcnt(0)
	v_cmpx_ne_u64_e64 v[2:3], v[13:14]
	s_cbranch_execz .LBB6_385
; %bb.383:
	s_mov_b32 s9, 0
.LBB6_384:                              ; =>This Inner Loop Header: Depth=1
	v_mov_b32_e32 v0, s6
	v_mov_b32_e32 v1, s7
	s_sleep 1
	global_store_dwordx2 v[4:5], v[2:3], off
	s_waitcnt_vscnt null, 0x0
	global_atomic_cmpswap_x2 v[0:1], v10, v[0:3], s[38:39] offset:32 glc
	s_waitcnt vmcnt(0)
	v_cmp_eq_u64_e32 vcc_lo, v[0:1], v[2:3]
	v_mov_b32_e32 v3, v1
	v_mov_b32_e32 v2, v0
	s_or_b32 s9, vcc_lo, s9
	s_andn2_b32 exec_lo, exec_lo, s9
	s_cbranch_execnz .LBB6_384
.LBB6_385:
	s_or_b32 exec_lo, exec_lo, s8
	v_mov_b32_e32 v3, 0
	s_mov_b32 s9, exec_lo
	s_mov_b32 s8, exec_lo
	v_mbcnt_lo_u32_b32 v2, s9, 0
	global_load_dwordx2 v[0:1], v3, s[38:39] offset:16
	v_cmpx_eq_u32_e32 0, v2
	s_cbranch_execz .LBB6_387
; %bb.386:
	s_bcnt1_i32_b32 s9, s9
	v_mov_b32_e32 v2, s9
	s_waitcnt vmcnt(0)
	global_atomic_add_x2 v[0:1], v[2:3], off offset:8
.LBB6_387:
	s_or_b32 exec_lo, exec_lo, s8
	s_waitcnt vmcnt(0)
	global_load_dwordx2 v[2:3], v[0:1], off offset:16
	s_waitcnt vmcnt(0)
	v_cmp_eq_u64_e32 vcc_lo, 0, v[2:3]
	s_cbranch_vccnz .LBB6_389
; %bb.388:
	global_load_dword v0, v[0:1], off offset:24
	v_mov_b32_e32 v1, 0
	s_waitcnt vmcnt(0)
	v_and_b32_e32 v4, 0x7fffff, v0
	s_waitcnt_vscnt null, 0x0
	global_store_dwordx2 v[2:3], v[0:1], off
	v_readfirstlane_b32 m0, v4
	s_sendmsg sendmsg(MSG_INTERRUPT)
.LBB6_389:
	s_or_b32 exec_lo, exec_lo, s5
	s_branch .LBB6_393
	.p2align	6
.LBB6_390:                              ;   in Loop: Header=BB6_393 Depth=1
	s_or_b32 exec_lo, exec_lo, s5
	v_readfirstlane_b32 s5, v0
	s_cmp_eq_u32 s5, 0
	s_cbranch_scc1 .LBB6_392
; %bb.391:                              ;   in Loop: Header=BB6_393 Depth=1
	s_sleep 1
	s_cbranch_execnz .LBB6_393
	s_branch .LBB6_395
.LBB6_392:
	s_branch .LBB6_395
.LBB6_393:                              ; =>This Inner Loop Header: Depth=1
	v_mov_b32_e32 v0, 1
	s_and_saveexec_b32 s5, s4
	s_cbranch_execz .LBB6_390
; %bb.394:                              ;   in Loop: Header=BB6_393 Depth=1
	global_load_dword v0, v[8:9], off offset:20 glc dlc
	s_waitcnt vmcnt(0)
	buffer_gl1_inv
	buffer_gl0_inv
	v_and_b32_e32 v0, 1, v0
	s_branch .LBB6_390
.LBB6_395:
	global_load_dwordx2 v[2:3], v[6:7], off
	s_and_saveexec_b32 s5, s4
	s_cbranch_execz .LBB6_399
; %bb.396:
	v_mov_b32_e32 v8, 0
	s_clause 0x2
	global_load_dwordx2 v[0:1], v8, s[38:39] offset:40
	global_load_dwordx2 v[9:10], v8, s[38:39] offset:24 glc dlc
	global_load_dwordx2 v[6:7], v8, s[38:39]
	s_waitcnt vmcnt(2)
	v_add_co_u32 v11, vcc_lo, v0, 1
	v_add_co_ci_u32_e32 v12, vcc_lo, 0, v1, vcc_lo
	v_add_co_u32 v4, vcc_lo, v11, s6
	v_add_co_ci_u32_e32 v5, vcc_lo, s7, v12, vcc_lo
	v_cmp_eq_u64_e32 vcc_lo, 0, v[4:5]
	v_cndmask_b32_e32 v5, v5, v12, vcc_lo
	v_cndmask_b32_e32 v4, v4, v11, vcc_lo
	v_and_b32_e32 v1, v5, v1
	v_and_b32_e32 v0, v4, v0
	v_mul_lo_u32 v1, v1, 24
	v_mul_hi_u32 v11, v0, 24
	v_mul_lo_u32 v0, v0, 24
	v_add_nc_u32_e32 v1, v11, v1
	s_waitcnt vmcnt(0)
	v_add_co_u32 v0, vcc_lo, v6, v0
	v_mov_b32_e32 v6, v9
	v_add_co_ci_u32_e32 v1, vcc_lo, v7, v1, vcc_lo
	v_mov_b32_e32 v7, v10
	global_store_dwordx2 v[0:1], v[9:10], off
	s_waitcnt_vscnt null, 0x0
	global_atomic_cmpswap_x2 v[6:7], v8, v[4:7], s[38:39] offset:24 glc
	s_waitcnt vmcnt(0)
	v_cmp_ne_u64_e32 vcc_lo, v[6:7], v[9:10]
	s_and_b32 exec_lo, exec_lo, vcc_lo
	s_cbranch_execz .LBB6_399
; %bb.397:
	s_mov_b32 s4, 0
.LBB6_398:                              ; =>This Inner Loop Header: Depth=1
	s_sleep 1
	global_store_dwordx2 v[0:1], v[6:7], off
	s_waitcnt_vscnt null, 0x0
	global_atomic_cmpswap_x2 v[9:10], v8, v[4:7], s[38:39] offset:24 glc
	s_waitcnt vmcnt(0)
	v_cmp_eq_u64_e32 vcc_lo, v[9:10], v[6:7]
	v_mov_b32_e32 v6, v9
	v_mov_b32_e32 v7, v10
	s_or_b32 s4, vcc_lo, s4
	s_andn2_b32 exec_lo, exec_lo, s4
	s_cbranch_execnz .LBB6_398
.LBB6_399:
	s_or_b32 exec_lo, exec_lo, s5
.LBB6_400:
	v_readfirstlane_b32 s4, v42
	s_waitcnt vmcnt(0)
	v_mov_b32_e32 v0, 0
	v_mov_b32_e32 v1, 0
	v_cmp_eq_u32_e64 s4, s4, v42
	s_and_saveexec_b32 s5, s4
	s_cbranch_execz .LBB6_406
; %bb.401:
	v_mov_b32_e32 v4, 0
	s_mov_b32 s6, exec_lo
	global_load_dwordx2 v[7:8], v4, s[38:39] offset:24 glc dlc
	s_waitcnt vmcnt(0)
	buffer_gl1_inv
	buffer_gl0_inv
	s_clause 0x1
	global_load_dwordx2 v[0:1], v4, s[38:39] offset:40
	global_load_dwordx2 v[5:6], v4, s[38:39]
	s_waitcnt vmcnt(1)
	v_and_b32_e32 v1, v1, v8
	v_and_b32_e32 v0, v0, v7
	v_mul_lo_u32 v1, v1, 24
	v_mul_hi_u32 v9, v0, 24
	v_mul_lo_u32 v0, v0, 24
	v_add_nc_u32_e32 v1, v9, v1
	s_waitcnt vmcnt(0)
	v_add_co_u32 v0, vcc_lo, v5, v0
	v_add_co_ci_u32_e32 v1, vcc_lo, v6, v1, vcc_lo
	global_load_dwordx2 v[5:6], v[0:1], off glc dlc
	s_waitcnt vmcnt(0)
	global_atomic_cmpswap_x2 v[0:1], v4, v[5:8], s[38:39] offset:24 glc
	s_waitcnt vmcnt(0)
	buffer_gl1_inv
	buffer_gl0_inv
	v_cmpx_ne_u64_e64 v[0:1], v[7:8]
	s_cbranch_execz .LBB6_405
; %bb.402:
	s_mov_b32 s7, 0
.LBB6_403:                              ; =>This Inner Loop Header: Depth=1
	s_sleep 1
	s_clause 0x1
	global_load_dwordx2 v[5:6], v4, s[38:39] offset:40
	global_load_dwordx2 v[9:10], v4, s[38:39]
	v_mov_b32_e32 v8, v1
	v_mov_b32_e32 v7, v0
	s_waitcnt vmcnt(1)
	v_and_b32_e32 v0, v5, v7
	v_and_b32_e32 v5, v6, v8
	s_waitcnt vmcnt(0)
	v_mad_u64_u32 v[0:1], null, v0, 24, v[9:10]
	v_mad_u64_u32 v[5:6], null, v5, 24, v[1:2]
	v_mov_b32_e32 v1, v5
	global_load_dwordx2 v[5:6], v[0:1], off glc dlc
	s_waitcnt vmcnt(0)
	global_atomic_cmpswap_x2 v[0:1], v4, v[5:8], s[38:39] offset:24 glc
	s_waitcnt vmcnt(0)
	buffer_gl1_inv
	buffer_gl0_inv
	v_cmp_eq_u64_e32 vcc_lo, v[0:1], v[7:8]
	s_or_b32 s7, vcc_lo, s7
	s_andn2_b32 exec_lo, exec_lo, s7
	s_cbranch_execnz .LBB6_403
; %bb.404:
	s_or_b32 exec_lo, exec_lo, s7
.LBB6_405:
	s_or_b32 exec_lo, exec_lo, s6
.LBB6_406:
	s_or_b32 exec_lo, exec_lo, s5
	v_mov_b32_e32 v5, 0
	v_readfirstlane_b32 s6, v0
	v_readfirstlane_b32 s7, v1
	s_mov_b32 s5, exec_lo
	s_clause 0x1
	global_load_dwordx2 v[10:11], v5, s[38:39] offset:40
	global_load_dwordx4 v[6:9], v5, s[38:39]
	s_waitcnt vmcnt(1)
	v_readfirstlane_b32 s8, v10
	v_readfirstlane_b32 s9, v11
	s_and_b64 s[8:9], s[6:7], s[8:9]
	s_mul_i32 s10, s9, 24
	s_mul_hi_u32 s11, s8, 24
	s_mul_i32 s12, s8, 24
	s_add_i32 s11, s11, s10
	s_waitcnt vmcnt(0)
	v_add_co_u32 v10, vcc_lo, v6, s12
	v_add_co_ci_u32_e32 v11, vcc_lo, s11, v7, vcc_lo
	s_and_saveexec_b32 s10, s4
	s_cbranch_execz .LBB6_408
; %bb.407:
	v_mov_b32_e32 v4, s5
	v_mov_b32_e32 v13, v5
	;; [unrolled: 1-line block ×5, first 2 shown]
	global_store_dwordx4 v[10:11], v[12:15], off offset:8
.LBB6_408:
	s_or_b32 exec_lo, exec_lo, s10
	s_lshl_b64 s[8:9], s[8:9], 12
	v_and_or_b32 v2, 0xffffff1d, v2, 34
	v_add_co_u32 v0, vcc_lo, v8, s8
	v_add_co_ci_u32_e32 v1, vcc_lo, s9, v9, vcc_lo
	s_mov_b32 s8, 0
	v_mov_b32_e32 v4, 10
	s_mov_b32 s11, s8
	s_mov_b32 s9, s8
	;; [unrolled: 1-line block ×3, first 2 shown]
	v_readfirstlane_b32 s12, v0
	v_readfirstlane_b32 s13, v1
	v_mov_b32_e32 v15, s11
	v_mov_b32_e32 v14, s10
	;; [unrolled: 1-line block ×4, first 2 shown]
	global_store_dwordx4 v41, v[2:5], s[12:13]
	global_store_dwordx4 v41, v[12:15], s[12:13] offset:16
	global_store_dwordx4 v41, v[12:15], s[12:13] offset:32
	;; [unrolled: 1-line block ×3, first 2 shown]
	s_and_saveexec_b32 s5, s4
	s_cbranch_execz .LBB6_416
; %bb.409:
	v_mov_b32_e32 v8, 0
	v_mov_b32_e32 v12, s6
	v_mov_b32_e32 v13, s7
	s_clause 0x1
	global_load_dwordx2 v[14:15], v8, s[38:39] offset:32 glc dlc
	global_load_dwordx2 v[0:1], v8, s[38:39] offset:40
	s_waitcnt vmcnt(0)
	v_readfirstlane_b32 s8, v0
	v_readfirstlane_b32 s9, v1
	s_and_b64 s[8:9], s[8:9], s[6:7]
	s_mul_i32 s9, s9, 24
	s_mul_hi_u32 s10, s8, 24
	s_mul_i32 s8, s8, 24
	s_add_i32 s10, s10, s9
	v_add_co_u32 v4, vcc_lo, v6, s8
	v_add_co_ci_u32_e32 v5, vcc_lo, s10, v7, vcc_lo
	s_mov_b32 s8, exec_lo
	global_store_dwordx2 v[4:5], v[14:15], off
	s_waitcnt_vscnt null, 0x0
	global_atomic_cmpswap_x2 v[2:3], v8, v[12:15], s[38:39] offset:32 glc
	s_waitcnt vmcnt(0)
	v_cmpx_ne_u64_e64 v[2:3], v[14:15]
	s_cbranch_execz .LBB6_412
; %bb.410:
	s_mov_b32 s9, 0
.LBB6_411:                              ; =>This Inner Loop Header: Depth=1
	v_mov_b32_e32 v0, s6
	v_mov_b32_e32 v1, s7
	s_sleep 1
	global_store_dwordx2 v[4:5], v[2:3], off
	s_waitcnt_vscnt null, 0x0
	global_atomic_cmpswap_x2 v[0:1], v8, v[0:3], s[38:39] offset:32 glc
	s_waitcnt vmcnt(0)
	v_cmp_eq_u64_e32 vcc_lo, v[0:1], v[2:3]
	v_mov_b32_e32 v3, v1
	v_mov_b32_e32 v2, v0
	s_or_b32 s9, vcc_lo, s9
	s_andn2_b32 exec_lo, exec_lo, s9
	s_cbranch_execnz .LBB6_411
.LBB6_412:
	s_or_b32 exec_lo, exec_lo, s8
	v_mov_b32_e32 v3, 0
	s_mov_b32 s9, exec_lo
	s_mov_b32 s8, exec_lo
	v_mbcnt_lo_u32_b32 v2, s9, 0
	global_load_dwordx2 v[0:1], v3, s[38:39] offset:16
	v_cmpx_eq_u32_e32 0, v2
	s_cbranch_execz .LBB6_414
; %bb.413:
	s_bcnt1_i32_b32 s9, s9
	v_mov_b32_e32 v2, s9
	s_waitcnt vmcnt(0)
	global_atomic_add_x2 v[0:1], v[2:3], off offset:8
.LBB6_414:
	s_or_b32 exec_lo, exec_lo, s8
	s_waitcnt vmcnt(0)
	global_load_dwordx2 v[2:3], v[0:1], off offset:16
	s_waitcnt vmcnt(0)
	v_cmp_eq_u64_e32 vcc_lo, 0, v[2:3]
	s_cbranch_vccnz .LBB6_416
; %bb.415:
	global_load_dword v0, v[0:1], off offset:24
	v_mov_b32_e32 v1, 0
	s_waitcnt vmcnt(0)
	v_and_b32_e32 v4, 0x7fffff, v0
	s_waitcnt_vscnt null, 0x0
	global_store_dwordx2 v[2:3], v[0:1], off
	v_readfirstlane_b32 m0, v4
	s_sendmsg sendmsg(MSG_INTERRUPT)
.LBB6_416:
	s_or_b32 exec_lo, exec_lo, s5
	s_branch .LBB6_420
	.p2align	6
.LBB6_417:                              ;   in Loop: Header=BB6_420 Depth=1
	s_or_b32 exec_lo, exec_lo, s5
	v_readfirstlane_b32 s5, v0
	s_cmp_eq_u32 s5, 0
	s_cbranch_scc1 .LBB6_419
; %bb.418:                              ;   in Loop: Header=BB6_420 Depth=1
	s_sleep 1
	s_cbranch_execnz .LBB6_420
	s_branch .LBB6_422
	.p2align	6
.LBB6_419:
	s_branch .LBB6_422
.LBB6_420:                              ; =>This Inner Loop Header: Depth=1
	v_mov_b32_e32 v0, 1
	s_and_saveexec_b32 s5, s4
	s_cbranch_execz .LBB6_417
; %bb.421:                              ;   in Loop: Header=BB6_420 Depth=1
	global_load_dword v0, v[10:11], off offset:20 glc dlc
	s_waitcnt vmcnt(0)
	buffer_gl1_inv
	buffer_gl0_inv
	v_and_b32_e32 v0, 1, v0
	s_branch .LBB6_417
.LBB6_422:
	s_and_saveexec_b32 s5, s4
	s_cbranch_execz .LBB6_426
; %bb.423:
	v_mov_b32_e32 v6, 0
	s_clause 0x2
	global_load_dwordx2 v[2:3], v6, s[38:39] offset:40
	global_load_dwordx2 v[7:8], v6, s[38:39] offset:24 glc dlc
	global_load_dwordx2 v[4:5], v6, s[38:39]
	s_waitcnt vmcnt(2)
	v_add_co_u32 v9, vcc_lo, v2, 1
	v_add_co_ci_u32_e32 v10, vcc_lo, 0, v3, vcc_lo
	v_add_co_u32 v0, vcc_lo, v9, s6
	v_add_co_ci_u32_e32 v1, vcc_lo, s7, v10, vcc_lo
	v_cmp_eq_u64_e32 vcc_lo, 0, v[0:1]
	v_cndmask_b32_e32 v1, v1, v10, vcc_lo
	v_cndmask_b32_e32 v0, v0, v9, vcc_lo
	v_and_b32_e32 v3, v1, v3
	v_and_b32_e32 v2, v0, v2
	v_mul_lo_u32 v3, v3, 24
	v_mul_hi_u32 v9, v2, 24
	v_mul_lo_u32 v2, v2, 24
	v_add_nc_u32_e32 v3, v9, v3
	s_waitcnt vmcnt(0)
	v_add_co_u32 v4, vcc_lo, v4, v2
	v_mov_b32_e32 v2, v7
	v_add_co_ci_u32_e32 v5, vcc_lo, v5, v3, vcc_lo
	v_mov_b32_e32 v3, v8
	global_store_dwordx2 v[4:5], v[7:8], off
	s_waitcnt_vscnt null, 0x0
	global_atomic_cmpswap_x2 v[2:3], v6, v[0:3], s[38:39] offset:24 glc
	s_waitcnt vmcnt(0)
	v_cmp_ne_u64_e32 vcc_lo, v[2:3], v[7:8]
	s_and_b32 exec_lo, exec_lo, vcc_lo
	s_cbranch_execz .LBB6_426
; %bb.424:
	s_mov_b32 s4, 0
.LBB6_425:                              ; =>This Inner Loop Header: Depth=1
	s_sleep 1
	global_store_dwordx2 v[4:5], v[2:3], off
	s_waitcnt_vscnt null, 0x0
	global_atomic_cmpswap_x2 v[7:8], v6, v[0:3], s[38:39] offset:24 glc
	s_waitcnt vmcnt(0)
	v_cmp_eq_u64_e32 vcc_lo, v[7:8], v[2:3]
	v_mov_b32_e32 v2, v7
	v_mov_b32_e32 v3, v8
	s_or_b32 s4, vcc_lo, s4
	s_andn2_b32 exec_lo, exec_lo, s4
	s_cbranch_execnz .LBB6_425
.LBB6_426:
	s_or_b32 exec_lo, exec_lo, s5
	v_readfirstlane_b32 s4, v42
	v_mov_b32_e32 v6, 0
	v_mov_b32_e32 v7, 0
	v_cmp_eq_u32_e64 s4, s4, v42
	s_and_saveexec_b32 s5, s4
	s_cbranch_execz .LBB6_432
; %bb.427:
	v_mov_b32_e32 v0, 0
	s_mov_b32 s6, exec_lo
	global_load_dwordx2 v[3:4], v0, s[38:39] offset:24 glc dlc
	s_waitcnt vmcnt(0)
	buffer_gl1_inv
	buffer_gl0_inv
	s_clause 0x1
	global_load_dwordx2 v[1:2], v0, s[38:39] offset:40
	global_load_dwordx2 v[5:6], v0, s[38:39]
	s_waitcnt vmcnt(1)
	v_and_b32_e32 v2, v2, v4
	v_and_b32_e32 v1, v1, v3
	v_mul_lo_u32 v2, v2, 24
	v_mul_hi_u32 v7, v1, 24
	v_mul_lo_u32 v1, v1, 24
	v_add_nc_u32_e32 v2, v7, v2
	s_waitcnt vmcnt(0)
	v_add_co_u32 v1, vcc_lo, v5, v1
	v_add_co_ci_u32_e32 v2, vcc_lo, v6, v2, vcc_lo
	global_load_dwordx2 v[1:2], v[1:2], off glc dlc
	s_waitcnt vmcnt(0)
	global_atomic_cmpswap_x2 v[6:7], v0, v[1:4], s[38:39] offset:24 glc
	s_waitcnt vmcnt(0)
	buffer_gl1_inv
	buffer_gl0_inv
	v_cmpx_ne_u64_e64 v[6:7], v[3:4]
	s_cbranch_execz .LBB6_431
; %bb.428:
	s_mov_b32 s7, 0
.LBB6_429:                              ; =>This Inner Loop Header: Depth=1
	s_sleep 1
	s_clause 0x1
	global_load_dwordx2 v[1:2], v0, s[38:39] offset:40
	global_load_dwordx2 v[8:9], v0, s[38:39]
	v_mov_b32_e32 v3, v6
	v_mov_b32_e32 v4, v7
	s_waitcnt vmcnt(1)
	v_and_b32_e32 v1, v1, v3
	v_and_b32_e32 v2, v2, v4
	s_waitcnt vmcnt(0)
	v_mad_u64_u32 v[5:6], null, v1, 24, v[8:9]
	v_mov_b32_e32 v1, v6
	v_mad_u64_u32 v[1:2], null, v2, 24, v[1:2]
	v_mov_b32_e32 v6, v1
	global_load_dwordx2 v[1:2], v[5:6], off glc dlc
	s_waitcnt vmcnt(0)
	global_atomic_cmpswap_x2 v[6:7], v0, v[1:4], s[38:39] offset:24 glc
	s_waitcnt vmcnt(0)
	buffer_gl1_inv
	buffer_gl0_inv
	v_cmp_eq_u64_e32 vcc_lo, v[6:7], v[3:4]
	s_or_b32 s7, vcc_lo, s7
	s_andn2_b32 exec_lo, exec_lo, s7
	s_cbranch_execnz .LBB6_429
; %bb.430:
	s_or_b32 exec_lo, exec_lo, s7
.LBB6_431:
	s_or_b32 exec_lo, exec_lo, s6
.LBB6_432:
	s_or_b32 exec_lo, exec_lo, s5
	v_mov_b32_e32 v5, 0
	v_readfirstlane_b32 s6, v6
	v_readfirstlane_b32 s7, v7
	s_mov_b32 s5, exec_lo
	s_clause 0x1
	global_load_dwordx2 v[8:9], v5, s[38:39] offset:40
	global_load_dwordx4 v[0:3], v5, s[38:39]
	s_waitcnt vmcnt(1)
	v_readfirstlane_b32 s8, v8
	v_readfirstlane_b32 s9, v9
	s_and_b64 s[8:9], s[6:7], s[8:9]
	s_mul_i32 s10, s9, 24
	s_mul_hi_u32 s11, s8, 24
	s_mul_i32 s12, s8, 24
	s_add_i32 s11, s11, s10
	s_waitcnt vmcnt(0)
	v_add_co_u32 v8, vcc_lo, v0, s12
	v_add_co_ci_u32_e32 v9, vcc_lo, s11, v1, vcc_lo
	s_and_saveexec_b32 s10, s4
	s_cbranch_execz .LBB6_434
; %bb.433:
	v_mov_b32_e32 v4, s5
	v_mov_b32_e32 v6, 2
	;; [unrolled: 1-line block ×3, first 2 shown]
	global_store_dwordx4 v[8:9], v[4:7], off offset:8
.LBB6_434:
	s_or_b32 exec_lo, exec_lo, s10
	s_lshl_b64 s[8:9], s[8:9], 12
	v_mov_b32_e32 v4, 33
	v_add_co_u32 v2, vcc_lo, v2, s8
	v_add_co_ci_u32_e32 v3, vcc_lo, s9, v3, vcc_lo
	s_mov_b32 s8, 0
	v_add_co_u32 v10, vcc_lo, v2, v41
	s_mov_b32 s11, s8
	s_mov_b32 s9, s8
	;; [unrolled: 1-line block ×3, first 2 shown]
	v_mov_b32_e32 v6, v5
	v_mov_b32_e32 v7, v5
	v_readfirstlane_b32 s12, v2
	v_readfirstlane_b32 s13, v3
	v_mov_b32_e32 v15, s11
	v_add_co_ci_u32_e32 v11, vcc_lo, 0, v3, vcc_lo
	v_mov_b32_e32 v14, s10
	v_mov_b32_e32 v13, s9
	;; [unrolled: 1-line block ×3, first 2 shown]
	global_store_dwordx4 v41, v[4:7], s[12:13]
	global_store_dwordx4 v41, v[12:15], s[12:13] offset:16
	global_store_dwordx4 v41, v[12:15], s[12:13] offset:32
	;; [unrolled: 1-line block ×3, first 2 shown]
	s_and_saveexec_b32 s5, s4
	s_cbranch_execz .LBB6_442
; %bb.435:
	v_mov_b32_e32 v6, 0
	v_mov_b32_e32 v12, s6
	;; [unrolled: 1-line block ×3, first 2 shown]
	s_clause 0x1
	global_load_dwordx2 v[14:15], v6, s[38:39] offset:32 glc dlc
	global_load_dwordx2 v[2:3], v6, s[38:39] offset:40
	s_waitcnt vmcnt(0)
	v_readfirstlane_b32 s8, v2
	v_readfirstlane_b32 s9, v3
	s_and_b64 s[8:9], s[8:9], s[6:7]
	s_mul_i32 s9, s9, 24
	s_mul_hi_u32 s10, s8, 24
	s_mul_i32 s8, s8, 24
	s_add_i32 s10, s10, s9
	v_add_co_u32 v4, vcc_lo, v0, s8
	v_add_co_ci_u32_e32 v5, vcc_lo, s10, v1, vcc_lo
	s_mov_b32 s8, exec_lo
	global_store_dwordx2 v[4:5], v[14:15], off
	s_waitcnt_vscnt null, 0x0
	global_atomic_cmpswap_x2 v[2:3], v6, v[12:15], s[38:39] offset:32 glc
	s_waitcnt vmcnt(0)
	v_cmpx_ne_u64_e64 v[2:3], v[14:15]
	s_cbranch_execz .LBB6_438
; %bb.436:
	s_mov_b32 s9, 0
.LBB6_437:                              ; =>This Inner Loop Header: Depth=1
	v_mov_b32_e32 v0, s6
	v_mov_b32_e32 v1, s7
	s_sleep 1
	global_store_dwordx2 v[4:5], v[2:3], off
	s_waitcnt_vscnt null, 0x0
	global_atomic_cmpswap_x2 v[0:1], v6, v[0:3], s[38:39] offset:32 glc
	s_waitcnt vmcnt(0)
	v_cmp_eq_u64_e32 vcc_lo, v[0:1], v[2:3]
	v_mov_b32_e32 v3, v1
	v_mov_b32_e32 v2, v0
	s_or_b32 s9, vcc_lo, s9
	s_andn2_b32 exec_lo, exec_lo, s9
	s_cbranch_execnz .LBB6_437
.LBB6_438:
	s_or_b32 exec_lo, exec_lo, s8
	v_mov_b32_e32 v3, 0
	s_mov_b32 s9, exec_lo
	s_mov_b32 s8, exec_lo
	v_mbcnt_lo_u32_b32 v2, s9, 0
	global_load_dwordx2 v[0:1], v3, s[38:39] offset:16
	v_cmpx_eq_u32_e32 0, v2
	s_cbranch_execz .LBB6_440
; %bb.439:
	s_bcnt1_i32_b32 s9, s9
	v_mov_b32_e32 v2, s9
	s_waitcnt vmcnt(0)
	global_atomic_add_x2 v[0:1], v[2:3], off offset:8
.LBB6_440:
	s_or_b32 exec_lo, exec_lo, s8
	s_waitcnt vmcnt(0)
	global_load_dwordx2 v[2:3], v[0:1], off offset:16
	s_waitcnt vmcnt(0)
	v_cmp_eq_u64_e32 vcc_lo, 0, v[2:3]
	s_cbranch_vccnz .LBB6_442
; %bb.441:
	global_load_dword v0, v[0:1], off offset:24
	v_mov_b32_e32 v1, 0
	s_waitcnt vmcnt(0)
	v_and_b32_e32 v4, 0x7fffff, v0
	s_waitcnt_vscnt null, 0x0
	global_store_dwordx2 v[2:3], v[0:1], off
	v_readfirstlane_b32 m0, v4
	s_sendmsg sendmsg(MSG_INTERRUPT)
.LBB6_442:
	s_or_b32 exec_lo, exec_lo, s5
	s_branch .LBB6_446
	.p2align	6
.LBB6_443:                              ;   in Loop: Header=BB6_446 Depth=1
	s_or_b32 exec_lo, exec_lo, s5
	v_readfirstlane_b32 s5, v0
	s_cmp_eq_u32 s5, 0
	s_cbranch_scc1 .LBB6_445
; %bb.444:                              ;   in Loop: Header=BB6_446 Depth=1
	s_sleep 1
	s_cbranch_execnz .LBB6_446
	s_branch .LBB6_448
	.p2align	6
.LBB6_445:
	s_branch .LBB6_448
.LBB6_446:                              ; =>This Inner Loop Header: Depth=1
	v_mov_b32_e32 v0, 1
	s_and_saveexec_b32 s5, s4
	s_cbranch_execz .LBB6_443
; %bb.447:                              ;   in Loop: Header=BB6_446 Depth=1
	global_load_dword v0, v[8:9], off offset:20 glc dlc
	s_waitcnt vmcnt(0)
	buffer_gl1_inv
	buffer_gl0_inv
	v_and_b32_e32 v0, 1, v0
	s_branch .LBB6_443
.LBB6_448:
	global_load_dwordx2 v[4:5], v[10:11], off
	s_and_saveexec_b32 s5, s4
	s_cbranch_execz .LBB6_452
; %bb.449:
	v_mov_b32_e32 v8, 0
	s_clause 0x2
	global_load_dwordx2 v[2:3], v8, s[38:39] offset:40
	global_load_dwordx2 v[9:10], v8, s[38:39] offset:24 glc dlc
	global_load_dwordx2 v[6:7], v8, s[38:39]
	s_waitcnt vmcnt(2)
	v_add_co_u32 v11, vcc_lo, v2, 1
	v_add_co_ci_u32_e32 v12, vcc_lo, 0, v3, vcc_lo
	v_add_co_u32 v0, vcc_lo, v11, s6
	v_add_co_ci_u32_e32 v1, vcc_lo, s7, v12, vcc_lo
	v_cmp_eq_u64_e32 vcc_lo, 0, v[0:1]
	v_cndmask_b32_e32 v1, v1, v12, vcc_lo
	v_cndmask_b32_e32 v0, v0, v11, vcc_lo
	v_and_b32_e32 v3, v1, v3
	v_and_b32_e32 v2, v0, v2
	v_mul_lo_u32 v3, v3, 24
	v_mul_hi_u32 v11, v2, 24
	v_mul_lo_u32 v2, v2, 24
	v_add_nc_u32_e32 v3, v11, v3
	s_waitcnt vmcnt(0)
	v_add_co_u32 v6, vcc_lo, v6, v2
	v_mov_b32_e32 v2, v9
	v_add_co_ci_u32_e32 v7, vcc_lo, v7, v3, vcc_lo
	v_mov_b32_e32 v3, v10
	global_store_dwordx2 v[6:7], v[9:10], off
	s_waitcnt_vscnt null, 0x0
	global_atomic_cmpswap_x2 v[2:3], v8, v[0:3], s[38:39] offset:24 glc
	s_waitcnt vmcnt(0)
	v_cmp_ne_u64_e32 vcc_lo, v[2:3], v[9:10]
	s_and_b32 exec_lo, exec_lo, vcc_lo
	s_cbranch_execz .LBB6_452
; %bb.450:
	s_mov_b32 s4, 0
.LBB6_451:                              ; =>This Inner Loop Header: Depth=1
	s_sleep 1
	global_store_dwordx2 v[6:7], v[2:3], off
	s_waitcnt_vscnt null, 0x0
	global_atomic_cmpswap_x2 v[9:10], v8, v[0:3], s[38:39] offset:24 glc
	s_waitcnt vmcnt(0)
	v_cmp_eq_u64_e32 vcc_lo, v[9:10], v[2:3]
	v_mov_b32_e32 v2, v9
	v_mov_b32_e32 v3, v10
	s_or_b32 s4, vcc_lo, s4
	s_andn2_b32 exec_lo, exec_lo, s4
	s_cbranch_execnz .LBB6_451
.LBB6_452:
	s_or_b32 exec_lo, exec_lo, s5
	s_and_b32 vcc_lo, exec_lo, s16
	s_cbranch_vccz .LBB6_531
; %bb.453:
	s_waitcnt vmcnt(0)
	v_and_b32_e32 v28, 2, v4
	v_mov_b32_e32 v7, 0
	v_and_b32_e32 v0, -3, v4
	v_mov_b32_e32 v1, v5
	v_mov_b32_e32 v8, 2
	;; [unrolled: 1-line block ×3, first 2 shown]
	s_mov_b64 s[8:9], 3
	s_getpc_b64 s[6:7]
	s_add_u32 s6, s6, .str.8@rel32@lo+4
	s_addc_u32 s7, s7, .str.8@rel32@hi+12
	s_branch .LBB6_455
.LBB6_454:                              ;   in Loop: Header=BB6_455 Depth=1
	s_or_b32 exec_lo, exec_lo, s5
	s_sub_u32 s8, s8, s10
	s_subb_u32 s9, s9, s11
	s_add_u32 s6, s6, s10
	s_addc_u32 s7, s7, s11
	s_cmp_lg_u64 s[8:9], 0
	s_cbranch_scc0 .LBB6_530
.LBB6_455:                              ; =>This Loop Header: Depth=1
                                        ;     Child Loop BB6_464 Depth 2
                                        ;     Child Loop BB6_460 Depth 2
	;; [unrolled: 1-line block ×11, first 2 shown]
	v_cmp_lt_u64_e64 s4, s[8:9], 56
	v_cmp_gt_u64_e64 s5, s[8:9], 7
                                        ; implicit-def: $vgpr2_vgpr3
                                        ; implicit-def: $sgpr17
	s_and_b32 s4, s4, exec_lo
	s_cselect_b32 s11, s9, 0
	s_cselect_b32 s10, s8, 56
	s_and_b32 vcc_lo, exec_lo, s5
	s_mov_b32 s4, -1
	s_cbranch_vccz .LBB6_462
; %bb.456:                              ;   in Loop: Header=BB6_455 Depth=1
	s_andn2_b32 vcc_lo, exec_lo, s4
	s_mov_b64 s[4:5], s[6:7]
	s_cbranch_vccz .LBB6_466
.LBB6_457:                              ;   in Loop: Header=BB6_455 Depth=1
	s_cmp_gt_u32 s17, 7
	s_cbranch_scc1 .LBB6_467
.LBB6_458:                              ;   in Loop: Header=BB6_455 Depth=1
	v_mov_b32_e32 v10, 0
	v_mov_b32_e32 v11, 0
	s_cmp_eq_u32 s17, 0
	s_cbranch_scc1 .LBB6_461
; %bb.459:                              ;   in Loop: Header=BB6_455 Depth=1
	s_mov_b64 s[12:13], 0
	s_mov_b64 s[14:15], 0
.LBB6_460:                              ;   Parent Loop BB6_455 Depth=1
                                        ; =>  This Inner Loop Header: Depth=2
	s_add_u32 s18, s4, s14
	s_addc_u32 s19, s5, s15
	s_add_u32 s14, s14, 1
	global_load_ubyte v6, v7, s[18:19]
	s_addc_u32 s15, s15, 0
	s_waitcnt vmcnt(0)
	v_and_b32_e32 v6, 0xffff, v6
	v_lshlrev_b64 v[12:13], s12, v[6:7]
	s_add_u32 s12, s12, 8
	s_addc_u32 s13, s13, 0
	s_cmp_lg_u32 s17, s14
	v_or_b32_e32 v10, v12, v10
	v_or_b32_e32 v11, v13, v11
	s_cbranch_scc1 .LBB6_460
.LBB6_461:                              ;   in Loop: Header=BB6_455 Depth=1
	s_mov_b32 s18, 0
	s_cbranch_execz .LBB6_468
	s_branch .LBB6_469
.LBB6_462:                              ;   in Loop: Header=BB6_455 Depth=1
	s_waitcnt vmcnt(0)
	v_mov_b32_e32 v2, 0
	v_mov_b32_e32 v3, 0
	s_cmp_eq_u64 s[8:9], 0
	s_mov_b64 s[4:5], 0
	s_cbranch_scc1 .LBB6_465
; %bb.463:                              ;   in Loop: Header=BB6_455 Depth=1
	v_mov_b32_e32 v2, 0
	v_mov_b32_e32 v3, 0
	s_lshl_b64 s[12:13], s[10:11], 3
	s_mov_b64 s[14:15], s[6:7]
.LBB6_464:                              ;   Parent Loop BB6_455 Depth=1
                                        ; =>  This Inner Loop Header: Depth=2
	global_load_ubyte v6, v7, s[14:15]
	s_waitcnt vmcnt(0)
	v_and_b32_e32 v6, 0xffff, v6
	v_lshlrev_b64 v[10:11], s4, v[6:7]
	s_add_u32 s4, s4, 8
	s_addc_u32 s5, s5, 0
	s_add_u32 s14, s14, 1
	s_addc_u32 s15, s15, 0
	s_cmp_lg_u32 s12, s4
	v_or_b32_e32 v2, v10, v2
	v_or_b32_e32 v3, v11, v3
	s_cbranch_scc1 .LBB6_464
.LBB6_465:                              ;   in Loop: Header=BB6_455 Depth=1
	s_mov_b32 s17, 0
	s_mov_b64 s[4:5], s[6:7]
	s_cbranch_execnz .LBB6_457
.LBB6_466:                              ;   in Loop: Header=BB6_455 Depth=1
	global_load_dwordx2 v[2:3], v7, s[6:7]
	s_add_i32 s17, s10, -8
	s_add_u32 s4, s6, 8
	s_addc_u32 s5, s7, 0
	s_cmp_gt_u32 s17, 7
	s_cbranch_scc0 .LBB6_458
.LBB6_467:                              ;   in Loop: Header=BB6_455 Depth=1
                                        ; implicit-def: $vgpr10_vgpr11
                                        ; implicit-def: $sgpr18
.LBB6_468:                              ;   in Loop: Header=BB6_455 Depth=1
	global_load_dwordx2 v[10:11], v7, s[4:5]
	s_add_i32 s18, s17, -8
	s_add_u32 s4, s4, 8
	s_addc_u32 s5, s5, 0
.LBB6_469:                              ;   in Loop: Header=BB6_455 Depth=1
	s_cmp_gt_u32 s18, 7
	s_cbranch_scc1 .LBB6_474
; %bb.470:                              ;   in Loop: Header=BB6_455 Depth=1
	v_mov_b32_e32 v12, 0
	v_mov_b32_e32 v13, 0
	s_cmp_eq_u32 s18, 0
	s_cbranch_scc1 .LBB6_473
; %bb.471:                              ;   in Loop: Header=BB6_455 Depth=1
	s_mov_b64 s[12:13], 0
	s_mov_b64 s[14:15], 0
.LBB6_472:                              ;   Parent Loop BB6_455 Depth=1
                                        ; =>  This Inner Loop Header: Depth=2
	s_add_u32 s20, s4, s14
	s_addc_u32 s21, s5, s15
	s_add_u32 s14, s14, 1
	global_load_ubyte v6, v7, s[20:21]
	s_addc_u32 s15, s15, 0
	s_waitcnt vmcnt(0)
	v_and_b32_e32 v6, 0xffff, v6
	v_lshlrev_b64 v[14:15], s12, v[6:7]
	s_add_u32 s12, s12, 8
	s_addc_u32 s13, s13, 0
	s_cmp_lg_u32 s18, s14
	v_or_b32_e32 v12, v14, v12
	v_or_b32_e32 v13, v15, v13
	s_cbranch_scc1 .LBB6_472
.LBB6_473:                              ;   in Loop: Header=BB6_455 Depth=1
	s_mov_b32 s17, 0
	s_cbranch_execz .LBB6_475
	s_branch .LBB6_476
.LBB6_474:                              ;   in Loop: Header=BB6_455 Depth=1
                                        ; implicit-def: $sgpr17
.LBB6_475:                              ;   in Loop: Header=BB6_455 Depth=1
	global_load_dwordx2 v[12:13], v7, s[4:5]
	s_add_i32 s17, s18, -8
	s_add_u32 s4, s4, 8
	s_addc_u32 s5, s5, 0
.LBB6_476:                              ;   in Loop: Header=BB6_455 Depth=1
	s_cmp_gt_u32 s17, 7
	s_cbranch_scc1 .LBB6_481
; %bb.477:                              ;   in Loop: Header=BB6_455 Depth=1
	v_mov_b32_e32 v14, 0
	v_mov_b32_e32 v15, 0
	s_cmp_eq_u32 s17, 0
	s_cbranch_scc1 .LBB6_480
; %bb.478:                              ;   in Loop: Header=BB6_455 Depth=1
	s_mov_b64 s[12:13], 0
	s_mov_b64 s[14:15], 0
.LBB6_479:                              ;   Parent Loop BB6_455 Depth=1
                                        ; =>  This Inner Loop Header: Depth=2
	s_add_u32 s18, s4, s14
	s_addc_u32 s19, s5, s15
	s_add_u32 s14, s14, 1
	global_load_ubyte v6, v7, s[18:19]
	s_addc_u32 s15, s15, 0
	s_waitcnt vmcnt(0)
	v_and_b32_e32 v6, 0xffff, v6
	v_lshlrev_b64 v[16:17], s12, v[6:7]
	s_add_u32 s12, s12, 8
	s_addc_u32 s13, s13, 0
	s_cmp_lg_u32 s17, s14
	v_or_b32_e32 v14, v16, v14
	v_or_b32_e32 v15, v17, v15
	s_cbranch_scc1 .LBB6_479
.LBB6_480:                              ;   in Loop: Header=BB6_455 Depth=1
	s_mov_b32 s18, 0
	s_cbranch_execz .LBB6_482
	s_branch .LBB6_483
.LBB6_481:                              ;   in Loop: Header=BB6_455 Depth=1
                                        ; implicit-def: $vgpr14_vgpr15
                                        ; implicit-def: $sgpr18
.LBB6_482:                              ;   in Loop: Header=BB6_455 Depth=1
	global_load_dwordx2 v[14:15], v7, s[4:5]
	s_add_i32 s18, s17, -8
	s_add_u32 s4, s4, 8
	s_addc_u32 s5, s5, 0
.LBB6_483:                              ;   in Loop: Header=BB6_455 Depth=1
	s_cmp_gt_u32 s18, 7
	s_cbranch_scc1 .LBB6_488
; %bb.484:                              ;   in Loop: Header=BB6_455 Depth=1
	v_mov_b32_e32 v16, 0
	v_mov_b32_e32 v17, 0
	s_cmp_eq_u32 s18, 0
	s_cbranch_scc1 .LBB6_487
; %bb.485:                              ;   in Loop: Header=BB6_455 Depth=1
	s_mov_b64 s[12:13], 0
	s_mov_b64 s[14:15], 0
.LBB6_486:                              ;   Parent Loop BB6_455 Depth=1
                                        ; =>  This Inner Loop Header: Depth=2
	s_add_u32 s20, s4, s14
	s_addc_u32 s21, s5, s15
	s_add_u32 s14, s14, 1
	global_load_ubyte v6, v7, s[20:21]
	s_addc_u32 s15, s15, 0
	s_waitcnt vmcnt(0)
	v_and_b32_e32 v6, 0xffff, v6
	v_lshlrev_b64 v[18:19], s12, v[6:7]
	s_add_u32 s12, s12, 8
	s_addc_u32 s13, s13, 0
	s_cmp_lg_u32 s18, s14
	v_or_b32_e32 v16, v18, v16
	v_or_b32_e32 v17, v19, v17
	s_cbranch_scc1 .LBB6_486
.LBB6_487:                              ;   in Loop: Header=BB6_455 Depth=1
	s_mov_b32 s17, 0
	s_cbranch_execz .LBB6_489
	s_branch .LBB6_490
.LBB6_488:                              ;   in Loop: Header=BB6_455 Depth=1
                                        ; implicit-def: $sgpr17
.LBB6_489:                              ;   in Loop: Header=BB6_455 Depth=1
	global_load_dwordx2 v[16:17], v7, s[4:5]
	s_add_i32 s17, s18, -8
	s_add_u32 s4, s4, 8
	s_addc_u32 s5, s5, 0
.LBB6_490:                              ;   in Loop: Header=BB6_455 Depth=1
	s_cmp_gt_u32 s17, 7
	s_cbranch_scc1 .LBB6_495
; %bb.491:                              ;   in Loop: Header=BB6_455 Depth=1
	v_mov_b32_e32 v18, 0
	v_mov_b32_e32 v19, 0
	s_cmp_eq_u32 s17, 0
	s_cbranch_scc1 .LBB6_494
; %bb.492:                              ;   in Loop: Header=BB6_455 Depth=1
	s_mov_b64 s[12:13], 0
	s_mov_b64 s[14:15], 0
.LBB6_493:                              ;   Parent Loop BB6_455 Depth=1
                                        ; =>  This Inner Loop Header: Depth=2
	s_add_u32 s18, s4, s14
	s_addc_u32 s19, s5, s15
	s_add_u32 s14, s14, 1
	global_load_ubyte v6, v7, s[18:19]
	s_addc_u32 s15, s15, 0
	s_waitcnt vmcnt(0)
	v_and_b32_e32 v6, 0xffff, v6
	v_lshlrev_b64 v[20:21], s12, v[6:7]
	s_add_u32 s12, s12, 8
	s_addc_u32 s13, s13, 0
	s_cmp_lg_u32 s17, s14
	v_or_b32_e32 v18, v20, v18
	v_or_b32_e32 v19, v21, v19
	s_cbranch_scc1 .LBB6_493
.LBB6_494:                              ;   in Loop: Header=BB6_455 Depth=1
	s_mov_b32 s18, 0
	s_cbranch_execz .LBB6_496
	s_branch .LBB6_497
.LBB6_495:                              ;   in Loop: Header=BB6_455 Depth=1
                                        ; implicit-def: $vgpr18_vgpr19
                                        ; implicit-def: $sgpr18
.LBB6_496:                              ;   in Loop: Header=BB6_455 Depth=1
	global_load_dwordx2 v[18:19], v7, s[4:5]
	s_add_i32 s18, s17, -8
	s_add_u32 s4, s4, 8
	s_addc_u32 s5, s5, 0
.LBB6_497:                              ;   in Loop: Header=BB6_455 Depth=1
	s_cmp_gt_u32 s18, 7
	s_cbranch_scc1 .LBB6_502
; %bb.498:                              ;   in Loop: Header=BB6_455 Depth=1
	v_mov_b32_e32 v20, 0
	v_mov_b32_e32 v21, 0
	s_cmp_eq_u32 s18, 0
	s_cbranch_scc1 .LBB6_501
; %bb.499:                              ;   in Loop: Header=BB6_455 Depth=1
	s_mov_b64 s[12:13], 0
	s_mov_b64 s[14:15], s[4:5]
.LBB6_500:                              ;   Parent Loop BB6_455 Depth=1
                                        ; =>  This Inner Loop Header: Depth=2
	global_load_ubyte v6, v7, s[14:15]
	s_add_i32 s18, s18, -1
	s_waitcnt vmcnt(0)
	v_and_b32_e32 v6, 0xffff, v6
	v_lshlrev_b64 v[22:23], s12, v[6:7]
	s_add_u32 s12, s12, 8
	s_addc_u32 s13, s13, 0
	s_add_u32 s14, s14, 1
	s_addc_u32 s15, s15, 0
	s_cmp_lg_u32 s18, 0
	v_or_b32_e32 v20, v22, v20
	v_or_b32_e32 v21, v23, v21
	s_cbranch_scc1 .LBB6_500
.LBB6_501:                              ;   in Loop: Header=BB6_455 Depth=1
	s_cbranch_execz .LBB6_503
	s_branch .LBB6_504
.LBB6_502:                              ;   in Loop: Header=BB6_455 Depth=1
.LBB6_503:                              ;   in Loop: Header=BB6_455 Depth=1
	global_load_dwordx2 v[20:21], v7, s[4:5]
.LBB6_504:                              ;   in Loop: Header=BB6_455 Depth=1
	v_readfirstlane_b32 s4, v42
	v_mov_b32_e32 v26, 0
	v_mov_b32_e32 v27, 0
	v_cmp_eq_u32_e64 s4, s4, v42
	s_and_saveexec_b32 s5, s4
	s_cbranch_execz .LBB6_510
; %bb.505:                              ;   in Loop: Header=BB6_455 Depth=1
	global_load_dwordx2 v[24:25], v7, s[38:39] offset:24 glc dlc
	s_waitcnt vmcnt(0)
	buffer_gl1_inv
	buffer_gl0_inv
	s_clause 0x1
	global_load_dwordx2 v[22:23], v7, s[38:39] offset:40
	global_load_dwordx2 v[26:27], v7, s[38:39]
	s_mov_b32 s12, exec_lo
	s_waitcnt vmcnt(1)
	v_and_b32_e32 v6, v23, v25
	v_and_b32_e32 v22, v22, v24
	v_mul_lo_u32 v6, v6, 24
	v_mul_hi_u32 v23, v22, 24
	v_mul_lo_u32 v22, v22, 24
	v_add_nc_u32_e32 v6, v23, v6
	s_waitcnt vmcnt(0)
	v_add_co_u32 v22, vcc_lo, v26, v22
	v_add_co_ci_u32_e32 v23, vcc_lo, v27, v6, vcc_lo
	global_load_dwordx2 v[22:23], v[22:23], off glc dlc
	s_waitcnt vmcnt(0)
	global_atomic_cmpswap_x2 v[26:27], v7, v[22:25], s[38:39] offset:24 glc
	s_waitcnt vmcnt(0)
	buffer_gl1_inv
	buffer_gl0_inv
	v_cmpx_ne_u64_e64 v[26:27], v[24:25]
	s_cbranch_execz .LBB6_509
; %bb.506:                              ;   in Loop: Header=BB6_455 Depth=1
	s_mov_b32 s13, 0
	.p2align	6
.LBB6_507:                              ;   Parent Loop BB6_455 Depth=1
                                        ; =>  This Inner Loop Header: Depth=2
	s_sleep 1
	s_clause 0x1
	global_load_dwordx2 v[22:23], v7, s[38:39] offset:40
	global_load_dwordx2 v[29:30], v7, s[38:39]
	v_mov_b32_e32 v24, v26
	v_mov_b32_e32 v25, v27
	s_waitcnt vmcnt(1)
	v_and_b32_e32 v6, v22, v24
	v_and_b32_e32 v22, v23, v25
	s_waitcnt vmcnt(0)
	v_mad_u64_u32 v[26:27], null, v6, 24, v[29:30]
	v_mov_b32_e32 v6, v27
	v_mad_u64_u32 v[22:23], null, v22, 24, v[6:7]
	v_mov_b32_e32 v27, v22
	global_load_dwordx2 v[22:23], v[26:27], off glc dlc
	s_waitcnt vmcnt(0)
	global_atomic_cmpswap_x2 v[26:27], v7, v[22:25], s[38:39] offset:24 glc
	s_waitcnt vmcnt(0)
	buffer_gl1_inv
	buffer_gl0_inv
	v_cmp_eq_u64_e32 vcc_lo, v[26:27], v[24:25]
	s_or_b32 s13, vcc_lo, s13
	s_andn2_b32 exec_lo, exec_lo, s13
	s_cbranch_execnz .LBB6_507
; %bb.508:                              ;   in Loop: Header=BB6_455 Depth=1
	s_or_b32 exec_lo, exec_lo, s13
.LBB6_509:                              ;   in Loop: Header=BB6_455 Depth=1
	s_or_b32 exec_lo, exec_lo, s12
.LBB6_510:                              ;   in Loop: Header=BB6_455 Depth=1
	s_or_b32 exec_lo, exec_lo, s5
	s_clause 0x1
	global_load_dwordx2 v[29:30], v7, s[38:39] offset:40
	global_load_dwordx4 v[22:25], v7, s[38:39]
	v_readfirstlane_b32 s12, v26
	v_readfirstlane_b32 s13, v27
	s_mov_b32 s5, exec_lo
	s_waitcnt vmcnt(1)
	v_readfirstlane_b32 s14, v29
	v_readfirstlane_b32 s15, v30
	s_and_b64 s[14:15], s[12:13], s[14:15]
	s_mul_i32 s17, s15, 24
	s_mul_hi_u32 s18, s14, 24
	s_mul_i32 s19, s14, 24
	s_add_i32 s18, s18, s17
	s_waitcnt vmcnt(0)
	v_add_co_u32 v26, vcc_lo, v22, s19
	v_add_co_ci_u32_e32 v27, vcc_lo, s18, v23, vcc_lo
	s_and_saveexec_b32 s17, s4
	s_cbranch_execz .LBB6_512
; %bb.511:                              ;   in Loop: Header=BB6_455 Depth=1
	v_mov_b32_e32 v6, s5
	global_store_dwordx4 v[26:27], v[6:9], off offset:8
.LBB6_512:                              ;   in Loop: Header=BB6_455 Depth=1
	s_or_b32 exec_lo, exec_lo, s17
	s_lshl_b64 s[14:15], s[14:15], 12
	v_cmp_gt_u64_e64 vcc_lo, s[8:9], 56
	v_or_b32_e32 v29, v0, v28
	v_add_co_u32 v24, s5, v24, s14
	v_add_co_ci_u32_e64 v25, s5, s15, v25, s5
	s_lshl_b32 s5, s10, 2
	v_or_b32_e32 v6, 0, v1
	v_cndmask_b32_e32 v0, v29, v0, vcc_lo
	s_add_i32 s5, s5, 28
	v_readfirstlane_b32 s14, v24
	s_and_b32 s5, s5, 0x1e0
	v_cndmask_b32_e32 v1, v6, v1, vcc_lo
	v_readfirstlane_b32 s15, v25
	v_and_or_b32 v0, 0xffffff1f, v0, s5
	global_store_dwordx4 v41, v[0:3], s[14:15]
	global_store_dwordx4 v41, v[10:13], s[14:15] offset:16
	global_store_dwordx4 v41, v[14:17], s[14:15] offset:32
	;; [unrolled: 1-line block ×3, first 2 shown]
	s_and_saveexec_b32 s5, s4
	s_cbranch_execz .LBB6_520
; %bb.513:                              ;   in Loop: Header=BB6_455 Depth=1
	s_clause 0x1
	global_load_dwordx2 v[14:15], v7, s[38:39] offset:32 glc dlc
	global_load_dwordx2 v[0:1], v7, s[38:39] offset:40
	v_mov_b32_e32 v12, s12
	v_mov_b32_e32 v13, s13
	s_waitcnt vmcnt(0)
	v_readfirstlane_b32 s14, v0
	v_readfirstlane_b32 s15, v1
	s_and_b64 s[14:15], s[14:15], s[12:13]
	s_mul_i32 s15, s15, 24
	s_mul_hi_u32 s17, s14, 24
	s_mul_i32 s14, s14, 24
	s_add_i32 s17, s17, s15
	v_add_co_u32 v10, vcc_lo, v22, s14
	v_add_co_ci_u32_e32 v11, vcc_lo, s17, v23, vcc_lo
	s_mov_b32 s14, exec_lo
	global_store_dwordx2 v[10:11], v[14:15], off
	s_waitcnt_vscnt null, 0x0
	global_atomic_cmpswap_x2 v[2:3], v7, v[12:15], s[38:39] offset:32 glc
	s_waitcnt vmcnt(0)
	v_cmpx_ne_u64_e64 v[2:3], v[14:15]
	s_cbranch_execz .LBB6_516
; %bb.514:                              ;   in Loop: Header=BB6_455 Depth=1
	s_mov_b32 s15, 0
.LBB6_515:                              ;   Parent Loop BB6_455 Depth=1
                                        ; =>  This Inner Loop Header: Depth=2
	v_mov_b32_e32 v0, s12
	v_mov_b32_e32 v1, s13
	s_sleep 1
	global_store_dwordx2 v[10:11], v[2:3], off
	s_waitcnt_vscnt null, 0x0
	global_atomic_cmpswap_x2 v[0:1], v7, v[0:3], s[38:39] offset:32 glc
	s_waitcnt vmcnt(0)
	v_cmp_eq_u64_e32 vcc_lo, v[0:1], v[2:3]
	v_mov_b32_e32 v3, v1
	v_mov_b32_e32 v2, v0
	s_or_b32 s15, vcc_lo, s15
	s_andn2_b32 exec_lo, exec_lo, s15
	s_cbranch_execnz .LBB6_515
.LBB6_516:                              ;   in Loop: Header=BB6_455 Depth=1
	s_or_b32 exec_lo, exec_lo, s14
	global_load_dwordx2 v[0:1], v7, s[38:39] offset:16
	s_mov_b32 s15, exec_lo
	s_mov_b32 s14, exec_lo
	v_mbcnt_lo_u32_b32 v2, s15, 0
	v_cmpx_eq_u32_e32 0, v2
	s_cbranch_execz .LBB6_518
; %bb.517:                              ;   in Loop: Header=BB6_455 Depth=1
	s_bcnt1_i32_b32 s15, s15
	v_mov_b32_e32 v6, s15
	s_waitcnt vmcnt(0)
	global_atomic_add_x2 v[0:1], v[6:7], off offset:8
.LBB6_518:                              ;   in Loop: Header=BB6_455 Depth=1
	s_or_b32 exec_lo, exec_lo, s14
	s_waitcnt vmcnt(0)
	global_load_dwordx2 v[2:3], v[0:1], off offset:16
	s_waitcnt vmcnt(0)
	v_cmp_eq_u64_e32 vcc_lo, 0, v[2:3]
	s_cbranch_vccnz .LBB6_520
; %bb.519:                              ;   in Loop: Header=BB6_455 Depth=1
	global_load_dword v6, v[0:1], off offset:24
	s_waitcnt vmcnt(0)
	v_and_b32_e32 v0, 0x7fffff, v6
	s_waitcnt_vscnt null, 0x0
	global_store_dwordx2 v[2:3], v[6:7], off
	v_readfirstlane_b32 m0, v0
	s_sendmsg sendmsg(MSG_INTERRUPT)
.LBB6_520:                              ;   in Loop: Header=BB6_455 Depth=1
	s_or_b32 exec_lo, exec_lo, s5
	v_add_co_u32 v0, vcc_lo, v24, v41
	v_add_co_ci_u32_e32 v1, vcc_lo, 0, v25, vcc_lo
	s_branch .LBB6_524
	.p2align	6
.LBB6_521:                              ;   in Loop: Header=BB6_524 Depth=2
	s_or_b32 exec_lo, exec_lo, s5
	v_readfirstlane_b32 s5, v2
	s_cmp_eq_u32 s5, 0
	s_cbranch_scc1 .LBB6_523
; %bb.522:                              ;   in Loop: Header=BB6_524 Depth=2
	s_sleep 1
	s_cbranch_execnz .LBB6_524
	s_branch .LBB6_526
	.p2align	6
.LBB6_523:                              ;   in Loop: Header=BB6_455 Depth=1
	s_branch .LBB6_526
.LBB6_524:                              ;   Parent Loop BB6_455 Depth=1
                                        ; =>  This Inner Loop Header: Depth=2
	v_mov_b32_e32 v2, 1
	s_and_saveexec_b32 s5, s4
	s_cbranch_execz .LBB6_521
; %bb.525:                              ;   in Loop: Header=BB6_524 Depth=2
	global_load_dword v2, v[26:27], off offset:20 glc dlc
	s_waitcnt vmcnt(0)
	buffer_gl1_inv
	buffer_gl0_inv
	v_and_b32_e32 v2, 1, v2
	s_branch .LBB6_521
.LBB6_526:                              ;   in Loop: Header=BB6_455 Depth=1
	global_load_dwordx4 v[0:3], v[0:1], off
	s_and_saveexec_b32 s5, s4
	s_cbranch_execz .LBB6_454
; %bb.527:                              ;   in Loop: Header=BB6_455 Depth=1
	s_clause 0x2
	global_load_dwordx2 v[2:3], v7, s[38:39] offset:40
	global_load_dwordx2 v[14:15], v7, s[38:39] offset:24 glc dlc
	global_load_dwordx2 v[12:13], v7, s[38:39]
	s_waitcnt vmcnt(2)
	v_add_co_u32 v6, vcc_lo, v2, 1
	v_add_co_ci_u32_e32 v16, vcc_lo, 0, v3, vcc_lo
	v_add_co_u32 v10, vcc_lo, v6, s12
	v_add_co_ci_u32_e32 v11, vcc_lo, s13, v16, vcc_lo
	v_cmp_eq_u64_e32 vcc_lo, 0, v[10:11]
	v_cndmask_b32_e32 v11, v11, v16, vcc_lo
	v_cndmask_b32_e32 v10, v10, v6, vcc_lo
	v_and_b32_e32 v3, v11, v3
	v_and_b32_e32 v2, v10, v2
	v_mul_lo_u32 v3, v3, 24
	v_mul_hi_u32 v6, v2, 24
	v_mul_lo_u32 v2, v2, 24
	v_add_nc_u32_e32 v3, v6, v3
	s_waitcnt vmcnt(0)
	v_add_co_u32 v2, vcc_lo, v12, v2
	v_mov_b32_e32 v12, v14
	v_add_co_ci_u32_e32 v3, vcc_lo, v13, v3, vcc_lo
	v_mov_b32_e32 v13, v15
	global_store_dwordx2 v[2:3], v[14:15], off
	s_waitcnt_vscnt null, 0x0
	global_atomic_cmpswap_x2 v[12:13], v7, v[10:13], s[38:39] offset:24 glc
	s_waitcnt vmcnt(0)
	v_cmp_ne_u64_e32 vcc_lo, v[12:13], v[14:15]
	s_and_b32 exec_lo, exec_lo, vcc_lo
	s_cbranch_execz .LBB6_454
; %bb.528:                              ;   in Loop: Header=BB6_455 Depth=1
	s_mov_b32 s4, 0
.LBB6_529:                              ;   Parent Loop BB6_455 Depth=1
                                        ; =>  This Inner Loop Header: Depth=2
	s_sleep 1
	global_store_dwordx2 v[2:3], v[12:13], off
	s_waitcnt_vscnt null, 0x0
	global_atomic_cmpswap_x2 v[14:15], v7, v[10:13], s[38:39] offset:24 glc
	s_waitcnt vmcnt(0)
	v_cmp_eq_u64_e32 vcc_lo, v[14:15], v[12:13]
	v_mov_b32_e32 v12, v14
	v_mov_b32_e32 v13, v15
	s_or_b32 s4, vcc_lo, s4
	s_andn2_b32 exec_lo, exec_lo, s4
	s_cbranch_execnz .LBB6_529
	s_branch .LBB6_454
.LBB6_530:
	s_mov_b32 s4, 0
	s_branch .LBB6_532
.LBB6_531:
	s_mov_b32 s4, -1
                                        ; implicit-def: $vgpr0_vgpr1
.LBB6_532:
	s_and_b32 vcc_lo, exec_lo, s4
	s_cbranch_vccz .LBB6_560
; %bb.533:
	v_readfirstlane_b32 s4, v42
	v_mov_b32_e32 v7, 0
	v_mov_b32_e32 v8, 0
	v_cmp_eq_u32_e64 s4, s4, v42
	s_and_saveexec_b32 s5, s4
	s_cbranch_execz .LBB6_539
; %bb.534:
	s_waitcnt vmcnt(0)
	v_mov_b32_e32 v0, 0
	s_mov_b32 s6, exec_lo
	global_load_dwordx2 v[9:10], v0, s[38:39] offset:24 glc dlc
	s_waitcnt vmcnt(0)
	buffer_gl1_inv
	buffer_gl0_inv
	s_clause 0x1
	global_load_dwordx2 v[1:2], v0, s[38:39] offset:40
	global_load_dwordx2 v[6:7], v0, s[38:39]
	s_waitcnt vmcnt(1)
	v_and_b32_e32 v2, v2, v10
	v_and_b32_e32 v1, v1, v9
	v_mul_lo_u32 v2, v2, 24
	v_mul_hi_u32 v3, v1, 24
	v_mul_lo_u32 v1, v1, 24
	v_add_nc_u32_e32 v2, v3, v2
	s_waitcnt vmcnt(0)
	v_add_co_u32 v1, vcc_lo, v6, v1
	v_add_co_ci_u32_e32 v2, vcc_lo, v7, v2, vcc_lo
	global_load_dwordx2 v[7:8], v[1:2], off glc dlc
	s_waitcnt vmcnt(0)
	global_atomic_cmpswap_x2 v[7:8], v0, v[7:10], s[38:39] offset:24 glc
	s_waitcnt vmcnt(0)
	buffer_gl1_inv
	buffer_gl0_inv
	v_cmpx_ne_u64_e64 v[7:8], v[9:10]
	s_cbranch_execz .LBB6_538
; %bb.535:
	s_mov_b32 s7, 0
.LBB6_536:                              ; =>This Inner Loop Header: Depth=1
	s_sleep 1
	s_clause 0x1
	global_load_dwordx2 v[1:2], v0, s[38:39] offset:40
	global_load_dwordx2 v[11:12], v0, s[38:39]
	v_mov_b32_e32 v10, v8
	v_mov_b32_e32 v9, v7
	s_waitcnt vmcnt(1)
	v_and_b32_e32 v1, v1, v9
	v_and_b32_e32 v2, v2, v10
	s_waitcnt vmcnt(0)
	v_mad_u64_u32 v[6:7], null, v1, 24, v[11:12]
	v_mov_b32_e32 v1, v7
	v_mad_u64_u32 v[1:2], null, v2, 24, v[1:2]
	v_mov_b32_e32 v7, v1
	global_load_dwordx2 v[7:8], v[6:7], off glc dlc
	s_waitcnt vmcnt(0)
	global_atomic_cmpswap_x2 v[7:8], v0, v[7:10], s[38:39] offset:24 glc
	s_waitcnt vmcnt(0)
	buffer_gl1_inv
	buffer_gl0_inv
	v_cmp_eq_u64_e32 vcc_lo, v[7:8], v[9:10]
	s_or_b32 s7, vcc_lo, s7
	s_andn2_b32 exec_lo, exec_lo, s7
	s_cbranch_execnz .LBB6_536
; %bb.537:
	s_or_b32 exec_lo, exec_lo, s7
.LBB6_538:
	s_or_b32 exec_lo, exec_lo, s6
.LBB6_539:
	s_or_b32 exec_lo, exec_lo, s5
	v_mov_b32_e32 v6, 0
	v_readfirstlane_b32 s6, v7
	v_readfirstlane_b32 s7, v8
	s_mov_b32 s5, exec_lo
	s_clause 0x1
	global_load_dwordx2 v[9:10], v6, s[38:39] offset:40
	global_load_dwordx4 v[0:3], v6, s[38:39]
	s_waitcnt vmcnt(1)
	v_readfirstlane_b32 s8, v9
	v_readfirstlane_b32 s9, v10
	s_and_b64 s[8:9], s[6:7], s[8:9]
	s_mul_i32 s10, s9, 24
	s_mul_hi_u32 s11, s8, 24
	s_mul_i32 s12, s8, 24
	s_add_i32 s11, s11, s10
	s_waitcnt vmcnt(0)
	v_add_co_u32 v8, vcc_lo, v0, s12
	v_add_co_ci_u32_e32 v9, vcc_lo, s11, v1, vcc_lo
	s_and_saveexec_b32 s10, s4
	s_cbranch_execz .LBB6_541
; %bb.540:
	v_mov_b32_e32 v10, s5
	v_mov_b32_e32 v11, v6
	;; [unrolled: 1-line block ×4, first 2 shown]
	global_store_dwordx4 v[8:9], v[10:13], off offset:8
.LBB6_541:
	s_or_b32 exec_lo, exec_lo, s10
	s_lshl_b64 s[8:9], s[8:9], 12
	v_and_or_b32 v4, 0xffffff1f, v4, 32
	v_add_co_u32 v2, vcc_lo, v2, s8
	v_add_co_ci_u32_e32 v3, vcc_lo, s9, v3, vcc_lo
	s_mov_b32 s8, 0
	v_add_co_u32 v10, vcc_lo, v2, v41
	s_mov_b32 s11, s8
	s_mov_b32 s9, s8
	;; [unrolled: 1-line block ×3, first 2 shown]
	v_mov_b32_e32 v7, v6
	v_readfirstlane_b32 s12, v2
	v_readfirstlane_b32 s13, v3
	v_mov_b32_e32 v15, s11
	v_add_co_ci_u32_e32 v11, vcc_lo, 0, v3, vcc_lo
	v_mov_b32_e32 v14, s10
	v_mov_b32_e32 v13, s9
	;; [unrolled: 1-line block ×3, first 2 shown]
	global_store_dwordx4 v41, v[4:7], s[12:13]
	global_store_dwordx4 v41, v[12:15], s[12:13] offset:16
	global_store_dwordx4 v41, v[12:15], s[12:13] offset:32
	;; [unrolled: 1-line block ×3, first 2 shown]
	s_and_saveexec_b32 s5, s4
	s_cbranch_execz .LBB6_549
; %bb.542:
	v_mov_b32_e32 v6, 0
	v_mov_b32_e32 v12, s6
	v_mov_b32_e32 v13, s7
	s_clause 0x1
	global_load_dwordx2 v[14:15], v6, s[38:39] offset:32 glc dlc
	global_load_dwordx2 v[2:3], v6, s[38:39] offset:40
	s_waitcnt vmcnt(0)
	v_readfirstlane_b32 s8, v2
	v_readfirstlane_b32 s9, v3
	s_and_b64 s[8:9], s[8:9], s[6:7]
	s_mul_i32 s9, s9, 24
	s_mul_hi_u32 s10, s8, 24
	s_mul_i32 s8, s8, 24
	s_add_i32 s10, s10, s9
	v_add_co_u32 v4, vcc_lo, v0, s8
	v_add_co_ci_u32_e32 v5, vcc_lo, s10, v1, vcc_lo
	s_mov_b32 s8, exec_lo
	global_store_dwordx2 v[4:5], v[14:15], off
	s_waitcnt_vscnt null, 0x0
	global_atomic_cmpswap_x2 v[2:3], v6, v[12:15], s[38:39] offset:32 glc
	s_waitcnt vmcnt(0)
	v_cmpx_ne_u64_e64 v[2:3], v[14:15]
	s_cbranch_execz .LBB6_545
; %bb.543:
	s_mov_b32 s9, 0
.LBB6_544:                              ; =>This Inner Loop Header: Depth=1
	v_mov_b32_e32 v0, s6
	v_mov_b32_e32 v1, s7
	s_sleep 1
	global_store_dwordx2 v[4:5], v[2:3], off
	s_waitcnt_vscnt null, 0x0
	global_atomic_cmpswap_x2 v[0:1], v6, v[0:3], s[38:39] offset:32 glc
	s_waitcnt vmcnt(0)
	v_cmp_eq_u64_e32 vcc_lo, v[0:1], v[2:3]
	v_mov_b32_e32 v3, v1
	v_mov_b32_e32 v2, v0
	s_or_b32 s9, vcc_lo, s9
	s_andn2_b32 exec_lo, exec_lo, s9
	s_cbranch_execnz .LBB6_544
.LBB6_545:
	s_or_b32 exec_lo, exec_lo, s8
	v_mov_b32_e32 v3, 0
	s_mov_b32 s9, exec_lo
	s_mov_b32 s8, exec_lo
	v_mbcnt_lo_u32_b32 v2, s9, 0
	global_load_dwordx2 v[0:1], v3, s[38:39] offset:16
	v_cmpx_eq_u32_e32 0, v2
	s_cbranch_execz .LBB6_547
; %bb.546:
	s_bcnt1_i32_b32 s9, s9
	v_mov_b32_e32 v2, s9
	s_waitcnt vmcnt(0)
	global_atomic_add_x2 v[0:1], v[2:3], off offset:8
.LBB6_547:
	s_or_b32 exec_lo, exec_lo, s8
	s_waitcnt vmcnt(0)
	global_load_dwordx2 v[2:3], v[0:1], off offset:16
	s_waitcnt vmcnt(0)
	v_cmp_eq_u64_e32 vcc_lo, 0, v[2:3]
	s_cbranch_vccnz .LBB6_549
; %bb.548:
	global_load_dword v0, v[0:1], off offset:24
	v_mov_b32_e32 v1, 0
	s_waitcnt vmcnt(0)
	v_and_b32_e32 v4, 0x7fffff, v0
	s_waitcnt_vscnt null, 0x0
	global_store_dwordx2 v[2:3], v[0:1], off
	v_readfirstlane_b32 m0, v4
	s_sendmsg sendmsg(MSG_INTERRUPT)
.LBB6_549:
	s_or_b32 exec_lo, exec_lo, s5
	s_branch .LBB6_553
	.p2align	6
.LBB6_550:                              ;   in Loop: Header=BB6_553 Depth=1
	s_or_b32 exec_lo, exec_lo, s5
	v_readfirstlane_b32 s5, v0
	s_cmp_eq_u32 s5, 0
	s_cbranch_scc1 .LBB6_552
; %bb.551:                              ;   in Loop: Header=BB6_553 Depth=1
	s_sleep 1
	s_cbranch_execnz .LBB6_553
	s_branch .LBB6_555
.LBB6_552:
	s_branch .LBB6_555
.LBB6_553:                              ; =>This Inner Loop Header: Depth=1
	v_mov_b32_e32 v0, 1
	s_and_saveexec_b32 s5, s4
	s_cbranch_execz .LBB6_550
; %bb.554:                              ;   in Loop: Header=BB6_553 Depth=1
	global_load_dword v0, v[8:9], off offset:20 glc dlc
	s_waitcnt vmcnt(0)
	buffer_gl1_inv
	buffer_gl0_inv
	v_and_b32_e32 v0, 1, v0
	s_branch .LBB6_550
.LBB6_555:
	global_load_dwordx2 v[0:1], v[10:11], off
	s_and_saveexec_b32 s5, s4
	s_cbranch_execz .LBB6_559
; %bb.556:
	v_mov_b32_e32 v8, 0
	s_clause 0x2
	global_load_dwordx2 v[4:5], v8, s[38:39] offset:40
	global_load_dwordx2 v[9:10], v8, s[38:39] offset:24 glc dlc
	global_load_dwordx2 v[6:7], v8, s[38:39]
	s_waitcnt vmcnt(2)
	v_add_co_u32 v11, vcc_lo, v4, 1
	v_add_co_ci_u32_e32 v12, vcc_lo, 0, v5, vcc_lo
	v_add_co_u32 v2, vcc_lo, v11, s6
	v_add_co_ci_u32_e32 v3, vcc_lo, s7, v12, vcc_lo
	v_cmp_eq_u64_e32 vcc_lo, 0, v[2:3]
	v_cndmask_b32_e32 v3, v3, v12, vcc_lo
	v_cndmask_b32_e32 v2, v2, v11, vcc_lo
	v_and_b32_e32 v5, v3, v5
	v_and_b32_e32 v4, v2, v4
	v_mul_lo_u32 v5, v5, 24
	v_mul_hi_u32 v11, v4, 24
	v_mul_lo_u32 v4, v4, 24
	v_add_nc_u32_e32 v5, v11, v5
	s_waitcnt vmcnt(0)
	v_add_co_u32 v6, vcc_lo, v6, v4
	v_mov_b32_e32 v4, v9
	v_add_co_ci_u32_e32 v7, vcc_lo, v7, v5, vcc_lo
	v_mov_b32_e32 v5, v10
	global_store_dwordx2 v[6:7], v[9:10], off
	s_waitcnt_vscnt null, 0x0
	global_atomic_cmpswap_x2 v[4:5], v8, v[2:5], s[38:39] offset:24 glc
	s_waitcnt vmcnt(0)
	v_cmp_ne_u64_e32 vcc_lo, v[4:5], v[9:10]
	s_and_b32 exec_lo, exec_lo, vcc_lo
	s_cbranch_execz .LBB6_559
; %bb.557:
	s_mov_b32 s4, 0
.LBB6_558:                              ; =>This Inner Loop Header: Depth=1
	s_sleep 1
	global_store_dwordx2 v[6:7], v[4:5], off
	s_waitcnt_vscnt null, 0x0
	global_atomic_cmpswap_x2 v[9:10], v8, v[2:5], s[38:39] offset:24 glc
	s_waitcnt vmcnt(0)
	v_cmp_eq_u64_e32 vcc_lo, v[9:10], v[4:5]
	v_mov_b32_e32 v4, v9
	v_mov_b32_e32 v5, v10
	s_or_b32 s4, vcc_lo, s4
	s_andn2_b32 exec_lo, exec_lo, s4
	s_cbranch_execnz .LBB6_558
.LBB6_559:
	s_or_b32 exec_lo, exec_lo, s5
.LBB6_560:
	s_getpc_b64 s[6:7]
	s_add_u32 s6, s6, .str.1@rel32@lo+4
	s_addc_u32 s7, s7, .str.1@rel32@hi+12
	s_cmp_lg_u64 s[6:7], 0
	s_cbranch_scc0 .LBB6_639
; %bb.561:
	s_waitcnt vmcnt(0)
	v_and_b32_e32 v6, -3, v0
	v_mov_b32_e32 v7, v1
	v_mov_b32_e32 v3, 0
	;; [unrolled: 1-line block ×4, first 2 shown]
	s_mov_b64 s[8:9], 0x4f
	s_branch .LBB6_563
.LBB6_562:                              ;   in Loop: Header=BB6_563 Depth=1
	s_or_b32 exec_lo, exec_lo, s5
	s_sub_u32 s8, s8, s10
	s_subb_u32 s9, s9, s11
	s_add_u32 s6, s6, s10
	s_addc_u32 s7, s7, s11
	s_cmp_lg_u64 s[8:9], 0
	s_cbranch_scc0 .LBB6_638
.LBB6_563:                              ; =>This Loop Header: Depth=1
                                        ;     Child Loop BB6_572 Depth 2
                                        ;     Child Loop BB6_568 Depth 2
	;; [unrolled: 1-line block ×11, first 2 shown]
	v_cmp_lt_u64_e64 s4, s[8:9], 56
	v_cmp_gt_u64_e64 s5, s[8:9], 7
                                        ; implicit-def: $sgpr17
	s_and_b32 s4, s4, exec_lo
	s_cselect_b32 s11, s9, 0
	s_cselect_b32 s10, s8, 56
	s_and_b32 vcc_lo, exec_lo, s5
	s_mov_b32 s4, -1
	s_cbranch_vccz .LBB6_570
; %bb.564:                              ;   in Loop: Header=BB6_563 Depth=1
	s_andn2_b32 vcc_lo, exec_lo, s4
	s_mov_b64 s[4:5], s[6:7]
	s_cbranch_vccz .LBB6_574
.LBB6_565:                              ;   in Loop: Header=BB6_563 Depth=1
	s_cmp_gt_u32 s17, 7
	s_cbranch_scc1 .LBB6_575
.LBB6_566:                              ;   in Loop: Header=BB6_563 Depth=1
	v_mov_b32_e32 v10, 0
	v_mov_b32_e32 v11, 0
	s_cmp_eq_u32 s17, 0
	s_cbranch_scc1 .LBB6_569
; %bb.567:                              ;   in Loop: Header=BB6_563 Depth=1
	s_mov_b64 s[12:13], 0
	s_mov_b64 s[14:15], 0
.LBB6_568:                              ;   Parent Loop BB6_563 Depth=1
                                        ; =>  This Inner Loop Header: Depth=2
	s_add_u32 s18, s4, s14
	s_addc_u32 s19, s5, s15
	s_add_u32 s14, s14, 1
	global_load_ubyte v2, v3, s[18:19]
	s_addc_u32 s15, s15, 0
	s_waitcnt vmcnt(0)
	v_and_b32_e32 v2, 0xffff, v2
	v_lshlrev_b64 v[12:13], s12, v[2:3]
	s_add_u32 s12, s12, 8
	s_addc_u32 s13, s13, 0
	s_cmp_lg_u32 s17, s14
	v_or_b32_e32 v10, v12, v10
	v_or_b32_e32 v11, v13, v11
	s_cbranch_scc1 .LBB6_568
.LBB6_569:                              ;   in Loop: Header=BB6_563 Depth=1
	s_mov_b32 s18, 0
	s_cbranch_execz .LBB6_576
	s_branch .LBB6_577
.LBB6_570:                              ;   in Loop: Header=BB6_563 Depth=1
	s_waitcnt vmcnt(0)
	v_mov_b32_e32 v8, 0
	v_mov_b32_e32 v9, 0
	s_cmp_eq_u64 s[8:9], 0
	s_mov_b64 s[4:5], 0
	s_cbranch_scc1 .LBB6_573
; %bb.571:                              ;   in Loop: Header=BB6_563 Depth=1
	v_mov_b32_e32 v8, 0
	v_mov_b32_e32 v9, 0
	s_lshl_b64 s[12:13], s[10:11], 3
	s_mov_b64 s[14:15], s[6:7]
.LBB6_572:                              ;   Parent Loop BB6_563 Depth=1
                                        ; =>  This Inner Loop Header: Depth=2
	global_load_ubyte v2, v3, s[14:15]
	s_waitcnt vmcnt(0)
	v_and_b32_e32 v2, 0xffff, v2
	v_lshlrev_b64 v[10:11], s4, v[2:3]
	s_add_u32 s4, s4, 8
	s_addc_u32 s5, s5, 0
	s_add_u32 s14, s14, 1
	s_addc_u32 s15, s15, 0
	s_cmp_lg_u32 s12, s4
	v_or_b32_e32 v8, v10, v8
	v_or_b32_e32 v9, v11, v9
	s_cbranch_scc1 .LBB6_572
.LBB6_573:                              ;   in Loop: Header=BB6_563 Depth=1
	s_mov_b32 s17, 0
	s_mov_b64 s[4:5], s[6:7]
	s_cbranch_execnz .LBB6_565
.LBB6_574:                              ;   in Loop: Header=BB6_563 Depth=1
	global_load_dwordx2 v[8:9], v3, s[6:7]
	s_add_i32 s17, s10, -8
	s_add_u32 s4, s6, 8
	s_addc_u32 s5, s7, 0
	s_cmp_gt_u32 s17, 7
	s_cbranch_scc0 .LBB6_566
.LBB6_575:                              ;   in Loop: Header=BB6_563 Depth=1
                                        ; implicit-def: $vgpr10_vgpr11
                                        ; implicit-def: $sgpr18
.LBB6_576:                              ;   in Loop: Header=BB6_563 Depth=1
	global_load_dwordx2 v[10:11], v3, s[4:5]
	s_add_i32 s18, s17, -8
	s_add_u32 s4, s4, 8
	s_addc_u32 s5, s5, 0
.LBB6_577:                              ;   in Loop: Header=BB6_563 Depth=1
	s_cmp_gt_u32 s18, 7
	s_cbranch_scc1 .LBB6_582
; %bb.578:                              ;   in Loop: Header=BB6_563 Depth=1
	v_mov_b32_e32 v12, 0
	v_mov_b32_e32 v13, 0
	s_cmp_eq_u32 s18, 0
	s_cbranch_scc1 .LBB6_581
; %bb.579:                              ;   in Loop: Header=BB6_563 Depth=1
	s_mov_b64 s[12:13], 0
	s_mov_b64 s[14:15], 0
.LBB6_580:                              ;   Parent Loop BB6_563 Depth=1
                                        ; =>  This Inner Loop Header: Depth=2
	s_add_u32 s20, s4, s14
	s_addc_u32 s21, s5, s15
	s_add_u32 s14, s14, 1
	global_load_ubyte v2, v3, s[20:21]
	s_addc_u32 s15, s15, 0
	s_waitcnt vmcnt(0)
	v_and_b32_e32 v2, 0xffff, v2
	v_lshlrev_b64 v[14:15], s12, v[2:3]
	s_add_u32 s12, s12, 8
	s_addc_u32 s13, s13, 0
	s_cmp_lg_u32 s18, s14
	v_or_b32_e32 v12, v14, v12
	v_or_b32_e32 v13, v15, v13
	s_cbranch_scc1 .LBB6_580
.LBB6_581:                              ;   in Loop: Header=BB6_563 Depth=1
	s_mov_b32 s17, 0
	s_cbranch_execz .LBB6_583
	s_branch .LBB6_584
.LBB6_582:                              ;   in Loop: Header=BB6_563 Depth=1
                                        ; implicit-def: $sgpr17
.LBB6_583:                              ;   in Loop: Header=BB6_563 Depth=1
	global_load_dwordx2 v[12:13], v3, s[4:5]
	s_add_i32 s17, s18, -8
	s_add_u32 s4, s4, 8
	s_addc_u32 s5, s5, 0
.LBB6_584:                              ;   in Loop: Header=BB6_563 Depth=1
	s_cmp_gt_u32 s17, 7
	s_cbranch_scc1 .LBB6_589
; %bb.585:                              ;   in Loop: Header=BB6_563 Depth=1
	v_mov_b32_e32 v14, 0
	v_mov_b32_e32 v15, 0
	s_cmp_eq_u32 s17, 0
	s_cbranch_scc1 .LBB6_588
; %bb.586:                              ;   in Loop: Header=BB6_563 Depth=1
	s_mov_b64 s[12:13], 0
	s_mov_b64 s[14:15], 0
.LBB6_587:                              ;   Parent Loop BB6_563 Depth=1
                                        ; =>  This Inner Loop Header: Depth=2
	s_add_u32 s18, s4, s14
	s_addc_u32 s19, s5, s15
	s_add_u32 s14, s14, 1
	global_load_ubyte v2, v3, s[18:19]
	s_addc_u32 s15, s15, 0
	s_waitcnt vmcnt(0)
	v_and_b32_e32 v2, 0xffff, v2
	v_lshlrev_b64 v[16:17], s12, v[2:3]
	s_add_u32 s12, s12, 8
	s_addc_u32 s13, s13, 0
	s_cmp_lg_u32 s17, s14
	v_or_b32_e32 v14, v16, v14
	v_or_b32_e32 v15, v17, v15
	s_cbranch_scc1 .LBB6_587
.LBB6_588:                              ;   in Loop: Header=BB6_563 Depth=1
	s_mov_b32 s18, 0
	s_cbranch_execz .LBB6_590
	s_branch .LBB6_591
.LBB6_589:                              ;   in Loop: Header=BB6_563 Depth=1
                                        ; implicit-def: $vgpr14_vgpr15
                                        ; implicit-def: $sgpr18
.LBB6_590:                              ;   in Loop: Header=BB6_563 Depth=1
	global_load_dwordx2 v[14:15], v3, s[4:5]
	s_add_i32 s18, s17, -8
	s_add_u32 s4, s4, 8
	s_addc_u32 s5, s5, 0
.LBB6_591:                              ;   in Loop: Header=BB6_563 Depth=1
	s_cmp_gt_u32 s18, 7
	s_cbranch_scc1 .LBB6_596
; %bb.592:                              ;   in Loop: Header=BB6_563 Depth=1
	v_mov_b32_e32 v16, 0
	v_mov_b32_e32 v17, 0
	s_cmp_eq_u32 s18, 0
	s_cbranch_scc1 .LBB6_595
; %bb.593:                              ;   in Loop: Header=BB6_563 Depth=1
	s_mov_b64 s[12:13], 0
	s_mov_b64 s[14:15], 0
.LBB6_594:                              ;   Parent Loop BB6_563 Depth=1
                                        ; =>  This Inner Loop Header: Depth=2
	s_add_u32 s20, s4, s14
	s_addc_u32 s21, s5, s15
	s_add_u32 s14, s14, 1
	global_load_ubyte v2, v3, s[20:21]
	s_addc_u32 s15, s15, 0
	s_waitcnt vmcnt(0)
	v_and_b32_e32 v2, 0xffff, v2
	v_lshlrev_b64 v[18:19], s12, v[2:3]
	s_add_u32 s12, s12, 8
	s_addc_u32 s13, s13, 0
	s_cmp_lg_u32 s18, s14
	v_or_b32_e32 v16, v18, v16
	v_or_b32_e32 v17, v19, v17
	s_cbranch_scc1 .LBB6_594
.LBB6_595:                              ;   in Loop: Header=BB6_563 Depth=1
	s_mov_b32 s17, 0
	s_cbranch_execz .LBB6_597
	s_branch .LBB6_598
.LBB6_596:                              ;   in Loop: Header=BB6_563 Depth=1
                                        ; implicit-def: $sgpr17
.LBB6_597:                              ;   in Loop: Header=BB6_563 Depth=1
	global_load_dwordx2 v[16:17], v3, s[4:5]
	s_add_i32 s17, s18, -8
	s_add_u32 s4, s4, 8
	s_addc_u32 s5, s5, 0
.LBB6_598:                              ;   in Loop: Header=BB6_563 Depth=1
	s_cmp_gt_u32 s17, 7
	s_cbranch_scc1 .LBB6_603
; %bb.599:                              ;   in Loop: Header=BB6_563 Depth=1
	v_mov_b32_e32 v18, 0
	v_mov_b32_e32 v19, 0
	s_cmp_eq_u32 s17, 0
	s_cbranch_scc1 .LBB6_602
; %bb.600:                              ;   in Loop: Header=BB6_563 Depth=1
	s_mov_b64 s[12:13], 0
	s_mov_b64 s[14:15], 0
.LBB6_601:                              ;   Parent Loop BB6_563 Depth=1
                                        ; =>  This Inner Loop Header: Depth=2
	s_add_u32 s18, s4, s14
	s_addc_u32 s19, s5, s15
	s_add_u32 s14, s14, 1
	global_load_ubyte v2, v3, s[18:19]
	s_addc_u32 s15, s15, 0
	s_waitcnt vmcnt(0)
	v_and_b32_e32 v2, 0xffff, v2
	v_lshlrev_b64 v[20:21], s12, v[2:3]
	s_add_u32 s12, s12, 8
	s_addc_u32 s13, s13, 0
	s_cmp_lg_u32 s17, s14
	v_or_b32_e32 v18, v20, v18
	v_or_b32_e32 v19, v21, v19
	s_cbranch_scc1 .LBB6_601
.LBB6_602:                              ;   in Loop: Header=BB6_563 Depth=1
	s_mov_b32 s18, 0
	s_cbranch_execz .LBB6_604
	s_branch .LBB6_605
.LBB6_603:                              ;   in Loop: Header=BB6_563 Depth=1
                                        ; implicit-def: $vgpr18_vgpr19
                                        ; implicit-def: $sgpr18
.LBB6_604:                              ;   in Loop: Header=BB6_563 Depth=1
	global_load_dwordx2 v[18:19], v3, s[4:5]
	s_add_i32 s18, s17, -8
	s_add_u32 s4, s4, 8
	s_addc_u32 s5, s5, 0
.LBB6_605:                              ;   in Loop: Header=BB6_563 Depth=1
	s_cmp_gt_u32 s18, 7
	s_cbranch_scc1 .LBB6_610
; %bb.606:                              ;   in Loop: Header=BB6_563 Depth=1
	v_mov_b32_e32 v20, 0
	v_mov_b32_e32 v21, 0
	s_cmp_eq_u32 s18, 0
	s_cbranch_scc1 .LBB6_609
; %bb.607:                              ;   in Loop: Header=BB6_563 Depth=1
	s_mov_b64 s[12:13], 0
	s_mov_b64 s[14:15], s[4:5]
.LBB6_608:                              ;   Parent Loop BB6_563 Depth=1
                                        ; =>  This Inner Loop Header: Depth=2
	global_load_ubyte v2, v3, s[14:15]
	s_add_i32 s18, s18, -1
	s_waitcnt vmcnt(0)
	v_and_b32_e32 v2, 0xffff, v2
	v_lshlrev_b64 v[22:23], s12, v[2:3]
	s_add_u32 s12, s12, 8
	s_addc_u32 s13, s13, 0
	s_add_u32 s14, s14, 1
	s_addc_u32 s15, s15, 0
	s_cmp_lg_u32 s18, 0
	v_or_b32_e32 v20, v22, v20
	v_or_b32_e32 v21, v23, v21
	s_cbranch_scc1 .LBB6_608
.LBB6_609:                              ;   in Loop: Header=BB6_563 Depth=1
	s_cbranch_execz .LBB6_611
	s_branch .LBB6_612
.LBB6_610:                              ;   in Loop: Header=BB6_563 Depth=1
.LBB6_611:                              ;   in Loop: Header=BB6_563 Depth=1
	global_load_dwordx2 v[20:21], v3, s[4:5]
.LBB6_612:                              ;   in Loop: Header=BB6_563 Depth=1
	v_readfirstlane_b32 s4, v42
	v_mov_b32_e32 v26, 0
	v_mov_b32_e32 v27, 0
	v_cmp_eq_u32_e64 s4, s4, v42
	s_and_saveexec_b32 s5, s4
	s_cbranch_execz .LBB6_618
; %bb.613:                              ;   in Loop: Header=BB6_563 Depth=1
	global_load_dwordx2 v[24:25], v3, s[38:39] offset:24 glc dlc
	s_waitcnt vmcnt(0)
	buffer_gl1_inv
	buffer_gl0_inv
	s_clause 0x1
	global_load_dwordx2 v[22:23], v3, s[38:39] offset:40
	global_load_dwordx2 v[26:27], v3, s[38:39]
	s_mov_b32 s12, exec_lo
	s_waitcnt vmcnt(1)
	v_and_b32_e32 v2, v23, v25
	v_and_b32_e32 v22, v22, v24
	v_mul_lo_u32 v2, v2, 24
	v_mul_hi_u32 v23, v22, 24
	v_mul_lo_u32 v22, v22, 24
	v_add_nc_u32_e32 v2, v23, v2
	s_waitcnt vmcnt(0)
	v_add_co_u32 v22, vcc_lo, v26, v22
	v_add_co_ci_u32_e32 v23, vcc_lo, v27, v2, vcc_lo
	global_load_dwordx2 v[22:23], v[22:23], off glc dlc
	s_waitcnt vmcnt(0)
	global_atomic_cmpswap_x2 v[26:27], v3, v[22:25], s[38:39] offset:24 glc
	s_waitcnt vmcnt(0)
	buffer_gl1_inv
	buffer_gl0_inv
	v_cmpx_ne_u64_e64 v[26:27], v[24:25]
	s_cbranch_execz .LBB6_617
; %bb.614:                              ;   in Loop: Header=BB6_563 Depth=1
	s_mov_b32 s13, 0
	.p2align	6
.LBB6_615:                              ;   Parent Loop BB6_563 Depth=1
                                        ; =>  This Inner Loop Header: Depth=2
	s_sleep 1
	s_clause 0x1
	global_load_dwordx2 v[22:23], v3, s[38:39] offset:40
	global_load_dwordx2 v[28:29], v3, s[38:39]
	v_mov_b32_e32 v24, v26
	v_mov_b32_e32 v25, v27
	s_waitcnt vmcnt(1)
	v_and_b32_e32 v2, v22, v24
	v_and_b32_e32 v22, v23, v25
	s_waitcnt vmcnt(0)
	v_mad_u64_u32 v[26:27], null, v2, 24, v[28:29]
	v_mov_b32_e32 v2, v27
	v_mad_u64_u32 v[22:23], null, v22, 24, v[2:3]
	v_mov_b32_e32 v27, v22
	global_load_dwordx2 v[22:23], v[26:27], off glc dlc
	s_waitcnt vmcnt(0)
	global_atomic_cmpswap_x2 v[26:27], v3, v[22:25], s[38:39] offset:24 glc
	s_waitcnt vmcnt(0)
	buffer_gl1_inv
	buffer_gl0_inv
	v_cmp_eq_u64_e32 vcc_lo, v[26:27], v[24:25]
	s_or_b32 s13, vcc_lo, s13
	s_andn2_b32 exec_lo, exec_lo, s13
	s_cbranch_execnz .LBB6_615
; %bb.616:                              ;   in Loop: Header=BB6_563 Depth=1
	s_or_b32 exec_lo, exec_lo, s13
.LBB6_617:                              ;   in Loop: Header=BB6_563 Depth=1
	s_or_b32 exec_lo, exec_lo, s12
.LBB6_618:                              ;   in Loop: Header=BB6_563 Depth=1
	s_or_b32 exec_lo, exec_lo, s5
	s_clause 0x1
	global_load_dwordx2 v[28:29], v3, s[38:39] offset:40
	global_load_dwordx4 v[22:25], v3, s[38:39]
	v_readfirstlane_b32 s12, v26
	v_readfirstlane_b32 s13, v27
	s_mov_b32 s5, exec_lo
	s_waitcnt vmcnt(1)
	v_readfirstlane_b32 s14, v28
	v_readfirstlane_b32 s15, v29
	s_and_b64 s[14:15], s[12:13], s[14:15]
	s_mul_i32 s17, s15, 24
	s_mul_hi_u32 s18, s14, 24
	s_mul_i32 s19, s14, 24
	s_add_i32 s18, s18, s17
	s_waitcnt vmcnt(0)
	v_add_co_u32 v26, vcc_lo, v22, s19
	v_add_co_ci_u32_e32 v27, vcc_lo, s18, v23, vcc_lo
	s_and_saveexec_b32 s17, s4
	s_cbranch_execz .LBB6_620
; %bb.619:                              ;   in Loop: Header=BB6_563 Depth=1
	v_mov_b32_e32 v2, s5
	global_store_dwordx4 v[26:27], v[2:5], off offset:8
.LBB6_620:                              ;   in Loop: Header=BB6_563 Depth=1
	s_or_b32 exec_lo, exec_lo, s17
	s_lshl_b64 s[14:15], s[14:15], 12
	v_or_b32_e32 v2, 2, v6
	v_add_co_u32 v24, vcc_lo, v24, s14
	v_add_co_ci_u32_e32 v25, vcc_lo, s15, v25, vcc_lo
	v_cmp_gt_u64_e64 vcc_lo, s[8:9], 56
	s_lshl_b32 s5, s10, 2
	v_readfirstlane_b32 s14, v24
	s_add_i32 s5, s5, 28
	v_readfirstlane_b32 s15, v25
	s_and_b32 s5, s5, 0x1e0
	v_cndmask_b32_e32 v2, v2, v6, vcc_lo
	v_and_or_b32 v6, 0xffffff1f, v2, s5
	global_store_dwordx4 v41, v[10:13], s[14:15] offset:16
	global_store_dwordx4 v41, v[6:9], s[14:15]
	global_store_dwordx4 v41, v[14:17], s[14:15] offset:32
	global_store_dwordx4 v41, v[18:21], s[14:15] offset:48
	s_and_saveexec_b32 s5, s4
	s_cbranch_execz .LBB6_628
; %bb.621:                              ;   in Loop: Header=BB6_563 Depth=1
	s_clause 0x1
	global_load_dwordx2 v[14:15], v3, s[38:39] offset:32 glc dlc
	global_load_dwordx2 v[6:7], v3, s[38:39] offset:40
	v_mov_b32_e32 v12, s12
	v_mov_b32_e32 v13, s13
	s_waitcnt vmcnt(0)
	v_readfirstlane_b32 s14, v6
	v_readfirstlane_b32 s15, v7
	s_and_b64 s[14:15], s[14:15], s[12:13]
	s_mul_i32 s15, s15, 24
	s_mul_hi_u32 s17, s14, 24
	s_mul_i32 s14, s14, 24
	s_add_i32 s17, s17, s15
	v_add_co_u32 v10, vcc_lo, v22, s14
	v_add_co_ci_u32_e32 v11, vcc_lo, s17, v23, vcc_lo
	s_mov_b32 s14, exec_lo
	global_store_dwordx2 v[10:11], v[14:15], off
	s_waitcnt_vscnt null, 0x0
	global_atomic_cmpswap_x2 v[8:9], v3, v[12:15], s[38:39] offset:32 glc
	s_waitcnt vmcnt(0)
	v_cmpx_ne_u64_e64 v[8:9], v[14:15]
	s_cbranch_execz .LBB6_624
; %bb.622:                              ;   in Loop: Header=BB6_563 Depth=1
	s_mov_b32 s15, 0
.LBB6_623:                              ;   Parent Loop BB6_563 Depth=1
                                        ; =>  This Inner Loop Header: Depth=2
	v_mov_b32_e32 v6, s12
	v_mov_b32_e32 v7, s13
	s_sleep 1
	global_store_dwordx2 v[10:11], v[8:9], off
	s_waitcnt_vscnt null, 0x0
	global_atomic_cmpswap_x2 v[6:7], v3, v[6:9], s[38:39] offset:32 glc
	s_waitcnt vmcnt(0)
	v_cmp_eq_u64_e32 vcc_lo, v[6:7], v[8:9]
	v_mov_b32_e32 v9, v7
	v_mov_b32_e32 v8, v6
	s_or_b32 s15, vcc_lo, s15
	s_andn2_b32 exec_lo, exec_lo, s15
	s_cbranch_execnz .LBB6_623
.LBB6_624:                              ;   in Loop: Header=BB6_563 Depth=1
	s_or_b32 exec_lo, exec_lo, s14
	global_load_dwordx2 v[6:7], v3, s[38:39] offset:16
	s_mov_b32 s15, exec_lo
	s_mov_b32 s14, exec_lo
	v_mbcnt_lo_u32_b32 v2, s15, 0
	v_cmpx_eq_u32_e32 0, v2
	s_cbranch_execz .LBB6_626
; %bb.625:                              ;   in Loop: Header=BB6_563 Depth=1
	s_bcnt1_i32_b32 s15, s15
	v_mov_b32_e32 v2, s15
	s_waitcnt vmcnt(0)
	global_atomic_add_x2 v[6:7], v[2:3], off offset:8
.LBB6_626:                              ;   in Loop: Header=BB6_563 Depth=1
	s_or_b32 exec_lo, exec_lo, s14
	s_waitcnt vmcnt(0)
	global_load_dwordx2 v[8:9], v[6:7], off offset:16
	s_waitcnt vmcnt(0)
	v_cmp_eq_u64_e32 vcc_lo, 0, v[8:9]
	s_cbranch_vccnz .LBB6_628
; %bb.627:                              ;   in Loop: Header=BB6_563 Depth=1
	global_load_dword v2, v[6:7], off offset:24
	s_waitcnt vmcnt(0)
	v_and_b32_e32 v6, 0x7fffff, v2
	s_waitcnt_vscnt null, 0x0
	global_store_dwordx2 v[8:9], v[2:3], off
	v_readfirstlane_b32 m0, v6
	s_sendmsg sendmsg(MSG_INTERRUPT)
.LBB6_628:                              ;   in Loop: Header=BB6_563 Depth=1
	s_or_b32 exec_lo, exec_lo, s5
	v_add_co_u32 v6, vcc_lo, v24, v41
	v_add_co_ci_u32_e32 v7, vcc_lo, 0, v25, vcc_lo
	s_branch .LBB6_632
	.p2align	6
.LBB6_629:                              ;   in Loop: Header=BB6_632 Depth=2
	s_or_b32 exec_lo, exec_lo, s5
	v_readfirstlane_b32 s5, v2
	s_cmp_eq_u32 s5, 0
	s_cbranch_scc1 .LBB6_631
; %bb.630:                              ;   in Loop: Header=BB6_632 Depth=2
	s_sleep 1
	s_cbranch_execnz .LBB6_632
	s_branch .LBB6_634
	.p2align	6
.LBB6_631:                              ;   in Loop: Header=BB6_563 Depth=1
	s_branch .LBB6_634
.LBB6_632:                              ;   Parent Loop BB6_563 Depth=1
                                        ; =>  This Inner Loop Header: Depth=2
	v_mov_b32_e32 v2, 1
	s_and_saveexec_b32 s5, s4
	s_cbranch_execz .LBB6_629
; %bb.633:                              ;   in Loop: Header=BB6_632 Depth=2
	global_load_dword v2, v[26:27], off offset:20 glc dlc
	s_waitcnt vmcnt(0)
	buffer_gl1_inv
	buffer_gl0_inv
	v_and_b32_e32 v2, 1, v2
	s_branch .LBB6_629
.LBB6_634:                              ;   in Loop: Header=BB6_563 Depth=1
	global_load_dwordx4 v[6:9], v[6:7], off
	s_and_saveexec_b32 s5, s4
	s_cbranch_execz .LBB6_562
; %bb.635:                              ;   in Loop: Header=BB6_563 Depth=1
	s_clause 0x2
	global_load_dwordx2 v[10:11], v3, s[38:39] offset:40
	global_load_dwordx2 v[14:15], v3, s[38:39] offset:24 glc dlc
	global_load_dwordx2 v[12:13], v3, s[38:39]
	s_waitcnt vmcnt(2)
	v_add_co_u32 v2, vcc_lo, v10, 1
	v_add_co_ci_u32_e32 v16, vcc_lo, 0, v11, vcc_lo
	v_add_co_u32 v8, vcc_lo, v2, s12
	v_add_co_ci_u32_e32 v9, vcc_lo, s13, v16, vcc_lo
	v_cmp_eq_u64_e32 vcc_lo, 0, v[8:9]
	v_cndmask_b32_e32 v9, v9, v16, vcc_lo
	v_cndmask_b32_e32 v8, v8, v2, vcc_lo
	v_and_b32_e32 v2, v9, v11
	v_and_b32_e32 v10, v8, v10
	v_mul_lo_u32 v2, v2, 24
	v_mul_hi_u32 v11, v10, 24
	v_mul_lo_u32 v10, v10, 24
	v_add_nc_u32_e32 v2, v11, v2
	s_waitcnt vmcnt(0)
	v_add_co_u32 v12, vcc_lo, v12, v10
	v_mov_b32_e32 v10, v14
	v_mov_b32_e32 v11, v15
	v_add_co_ci_u32_e32 v13, vcc_lo, v13, v2, vcc_lo
	global_store_dwordx2 v[12:13], v[14:15], off
	s_waitcnt_vscnt null, 0x0
	global_atomic_cmpswap_x2 v[10:11], v3, v[8:11], s[38:39] offset:24 glc
	s_waitcnt vmcnt(0)
	v_cmp_ne_u64_e32 vcc_lo, v[10:11], v[14:15]
	s_and_b32 exec_lo, exec_lo, vcc_lo
	s_cbranch_execz .LBB6_562
; %bb.636:                              ;   in Loop: Header=BB6_563 Depth=1
	s_mov_b32 s4, 0
.LBB6_637:                              ;   Parent Loop BB6_563 Depth=1
                                        ; =>  This Inner Loop Header: Depth=2
	s_sleep 1
	global_store_dwordx2 v[12:13], v[10:11], off
	s_waitcnt_vscnt null, 0x0
	global_atomic_cmpswap_x2 v[14:15], v3, v[8:11], s[38:39] offset:24 glc
	s_waitcnt vmcnt(0)
	v_cmp_eq_u64_e32 vcc_lo, v[14:15], v[10:11]
	v_mov_b32_e32 v10, v14
	v_mov_b32_e32 v11, v15
	s_or_b32 s4, vcc_lo, s4
	s_andn2_b32 exec_lo, exec_lo, s4
	s_cbranch_execnz .LBB6_637
	s_branch .LBB6_562
.LBB6_638:
	s_mov_b32 s4, 0
	s_branch .LBB6_640
.LBB6_639:
	s_mov_b32 s4, -1
.LBB6_640:
	s_and_b32 vcc_lo, exec_lo, s4
	s_cbranch_vccz .LBB6_668
; %bb.641:
	v_readfirstlane_b32 s4, v42
	s_waitcnt vmcnt(0)
	v_mov_b32_e32 v8, 0
	v_mov_b32_e32 v9, 0
	v_cmp_eq_u32_e64 s4, s4, v42
	s_and_saveexec_b32 s5, s4
	s_cbranch_execz .LBB6_647
; %bb.642:
	v_mov_b32_e32 v2, 0
	s_mov_b32 s6, exec_lo
	global_load_dwordx2 v[5:6], v2, s[38:39] offset:24 glc dlc
	s_waitcnt vmcnt(0)
	buffer_gl1_inv
	buffer_gl0_inv
	s_clause 0x1
	global_load_dwordx2 v[3:4], v2, s[38:39] offset:40
	global_load_dwordx2 v[7:8], v2, s[38:39]
	s_waitcnt vmcnt(1)
	v_and_b32_e32 v4, v4, v6
	v_and_b32_e32 v3, v3, v5
	v_mul_lo_u32 v4, v4, 24
	v_mul_hi_u32 v9, v3, 24
	v_mul_lo_u32 v3, v3, 24
	v_add_nc_u32_e32 v4, v9, v4
	s_waitcnt vmcnt(0)
	v_add_co_u32 v3, vcc_lo, v7, v3
	v_add_co_ci_u32_e32 v4, vcc_lo, v8, v4, vcc_lo
	global_load_dwordx2 v[3:4], v[3:4], off glc dlc
	s_waitcnt vmcnt(0)
	global_atomic_cmpswap_x2 v[8:9], v2, v[3:6], s[38:39] offset:24 glc
	s_waitcnt vmcnt(0)
	buffer_gl1_inv
	buffer_gl0_inv
	v_cmpx_ne_u64_e64 v[8:9], v[5:6]
	s_cbranch_execz .LBB6_646
; %bb.643:
	s_mov_b32 s7, 0
.LBB6_644:                              ; =>This Inner Loop Header: Depth=1
	s_sleep 1
	s_clause 0x1
	global_load_dwordx2 v[3:4], v2, s[38:39] offset:40
	global_load_dwordx2 v[10:11], v2, s[38:39]
	v_mov_b32_e32 v5, v8
	v_mov_b32_e32 v6, v9
	s_waitcnt vmcnt(1)
	v_and_b32_e32 v3, v3, v5
	v_and_b32_e32 v4, v4, v6
	s_waitcnt vmcnt(0)
	v_mad_u64_u32 v[7:8], null, v3, 24, v[10:11]
	v_mov_b32_e32 v3, v8
	v_mad_u64_u32 v[3:4], null, v4, 24, v[3:4]
	v_mov_b32_e32 v8, v3
	global_load_dwordx2 v[3:4], v[7:8], off glc dlc
	s_waitcnt vmcnt(0)
	global_atomic_cmpswap_x2 v[8:9], v2, v[3:6], s[38:39] offset:24 glc
	s_waitcnt vmcnt(0)
	buffer_gl1_inv
	buffer_gl0_inv
	v_cmp_eq_u64_e32 vcc_lo, v[8:9], v[5:6]
	s_or_b32 s7, vcc_lo, s7
	s_andn2_b32 exec_lo, exec_lo, s7
	s_cbranch_execnz .LBB6_644
; %bb.645:
	s_or_b32 exec_lo, exec_lo, s7
.LBB6_646:
	s_or_b32 exec_lo, exec_lo, s6
.LBB6_647:
	s_or_b32 exec_lo, exec_lo, s5
	v_mov_b32_e32 v2, 0
	v_readfirstlane_b32 s6, v8
	v_readfirstlane_b32 s7, v9
	s_mov_b32 s5, exec_lo
	s_clause 0x1
	global_load_dwordx2 v[10:11], v2, s[38:39] offset:40
	global_load_dwordx4 v[4:7], v2, s[38:39]
	s_waitcnt vmcnt(1)
	v_readfirstlane_b32 s8, v10
	v_readfirstlane_b32 s9, v11
	s_and_b64 s[8:9], s[6:7], s[8:9]
	s_mul_i32 s10, s9, 24
	s_mul_hi_u32 s11, s8, 24
	s_mul_i32 s12, s8, 24
	s_add_i32 s11, s11, s10
	s_waitcnt vmcnt(0)
	v_add_co_u32 v8, vcc_lo, v4, s12
	v_add_co_ci_u32_e32 v9, vcc_lo, s11, v5, vcc_lo
	s_and_saveexec_b32 s10, s4
	s_cbranch_execz .LBB6_649
; %bb.648:
	v_mov_b32_e32 v10, s5
	v_mov_b32_e32 v11, v2
	;; [unrolled: 1-line block ×4, first 2 shown]
	global_store_dwordx4 v[8:9], v[10:13], off offset:8
.LBB6_649:
	s_or_b32 exec_lo, exec_lo, s10
	s_lshl_b64 s[8:9], s[8:9], 12
	v_and_or_b32 v0, 0xffffff1d, v0, 34
	v_add_co_u32 v6, vcc_lo, v6, s8
	v_add_co_ci_u32_e32 v7, vcc_lo, s9, v7, vcc_lo
	s_mov_b32 s8, 0
	v_mov_b32_e32 v3, v2
	s_mov_b32 s11, s8
	s_mov_b32 s9, s8
	;; [unrolled: 1-line block ×3, first 2 shown]
	v_readfirstlane_b32 s12, v6
	v_readfirstlane_b32 s13, v7
	v_mov_b32_e32 v13, s11
	v_mov_b32_e32 v12, s10
	;; [unrolled: 1-line block ×4, first 2 shown]
	global_store_dwordx4 v41, v[0:3], s[12:13]
	global_store_dwordx4 v41, v[10:13], s[12:13] offset:16
	global_store_dwordx4 v41, v[10:13], s[12:13] offset:32
	;; [unrolled: 1-line block ×3, first 2 shown]
	s_and_saveexec_b32 s5, s4
	s_cbranch_execz .LBB6_657
; %bb.650:
	v_mov_b32_e32 v6, 0
	v_mov_b32_e32 v10, s6
	;; [unrolled: 1-line block ×3, first 2 shown]
	s_clause 0x1
	global_load_dwordx2 v[12:13], v6, s[38:39] offset:32 glc dlc
	global_load_dwordx2 v[0:1], v6, s[38:39] offset:40
	s_waitcnt vmcnt(0)
	v_readfirstlane_b32 s8, v0
	v_readfirstlane_b32 s9, v1
	s_and_b64 s[8:9], s[8:9], s[6:7]
	s_mul_i32 s9, s9, 24
	s_mul_hi_u32 s10, s8, 24
	s_mul_i32 s8, s8, 24
	s_add_i32 s10, s10, s9
	v_add_co_u32 v4, vcc_lo, v4, s8
	v_add_co_ci_u32_e32 v5, vcc_lo, s10, v5, vcc_lo
	s_mov_b32 s8, exec_lo
	global_store_dwordx2 v[4:5], v[12:13], off
	s_waitcnt_vscnt null, 0x0
	global_atomic_cmpswap_x2 v[2:3], v6, v[10:13], s[38:39] offset:32 glc
	s_waitcnt vmcnt(0)
	v_cmpx_ne_u64_e64 v[2:3], v[12:13]
	s_cbranch_execz .LBB6_653
; %bb.651:
	s_mov_b32 s9, 0
.LBB6_652:                              ; =>This Inner Loop Header: Depth=1
	v_mov_b32_e32 v0, s6
	v_mov_b32_e32 v1, s7
	s_sleep 1
	global_store_dwordx2 v[4:5], v[2:3], off
	s_waitcnt_vscnt null, 0x0
	global_atomic_cmpswap_x2 v[0:1], v6, v[0:3], s[38:39] offset:32 glc
	s_waitcnt vmcnt(0)
	v_cmp_eq_u64_e32 vcc_lo, v[0:1], v[2:3]
	v_mov_b32_e32 v3, v1
	v_mov_b32_e32 v2, v0
	s_or_b32 s9, vcc_lo, s9
	s_andn2_b32 exec_lo, exec_lo, s9
	s_cbranch_execnz .LBB6_652
.LBB6_653:
	s_or_b32 exec_lo, exec_lo, s8
	v_mov_b32_e32 v3, 0
	s_mov_b32 s9, exec_lo
	s_mov_b32 s8, exec_lo
	v_mbcnt_lo_u32_b32 v2, s9, 0
	global_load_dwordx2 v[0:1], v3, s[38:39] offset:16
	v_cmpx_eq_u32_e32 0, v2
	s_cbranch_execz .LBB6_655
; %bb.654:
	s_bcnt1_i32_b32 s9, s9
	v_mov_b32_e32 v2, s9
	s_waitcnt vmcnt(0)
	global_atomic_add_x2 v[0:1], v[2:3], off offset:8
.LBB6_655:
	s_or_b32 exec_lo, exec_lo, s8
	s_waitcnt vmcnt(0)
	global_load_dwordx2 v[2:3], v[0:1], off offset:16
	s_waitcnt vmcnt(0)
	v_cmp_eq_u64_e32 vcc_lo, 0, v[2:3]
	s_cbranch_vccnz .LBB6_657
; %bb.656:
	global_load_dword v0, v[0:1], off offset:24
	v_mov_b32_e32 v1, 0
	s_waitcnt vmcnt(0)
	v_and_b32_e32 v4, 0x7fffff, v0
	s_waitcnt_vscnt null, 0x0
	global_store_dwordx2 v[2:3], v[0:1], off
	v_readfirstlane_b32 m0, v4
	s_sendmsg sendmsg(MSG_INTERRUPT)
.LBB6_657:
	s_or_b32 exec_lo, exec_lo, s5
	s_branch .LBB6_661
	.p2align	6
.LBB6_658:                              ;   in Loop: Header=BB6_661 Depth=1
	s_or_b32 exec_lo, exec_lo, s5
	v_readfirstlane_b32 s5, v0
	s_cmp_eq_u32 s5, 0
	s_cbranch_scc1 .LBB6_660
; %bb.659:                              ;   in Loop: Header=BB6_661 Depth=1
	s_sleep 1
	s_cbranch_execnz .LBB6_661
	s_branch .LBB6_663
.LBB6_660:
	s_branch .LBB6_663
.LBB6_661:                              ; =>This Inner Loop Header: Depth=1
	v_mov_b32_e32 v0, 1
	s_and_saveexec_b32 s5, s4
	s_cbranch_execz .LBB6_658
; %bb.662:                              ;   in Loop: Header=BB6_661 Depth=1
	global_load_dword v0, v[8:9], off offset:20 glc dlc
	s_waitcnt vmcnt(0)
	buffer_gl1_inv
	buffer_gl0_inv
	v_and_b32_e32 v0, 1, v0
	s_branch .LBB6_658
.LBB6_663:
	s_and_saveexec_b32 s5, s4
	s_cbranch_execz .LBB6_667
; %bb.664:
	v_mov_b32_e32 v6, 0
	s_clause 0x2
	global_load_dwordx2 v[2:3], v6, s[38:39] offset:40
	global_load_dwordx2 v[7:8], v6, s[38:39] offset:24 glc dlc
	global_load_dwordx2 v[4:5], v6, s[38:39]
	s_waitcnt vmcnt(2)
	v_add_co_u32 v9, vcc_lo, v2, 1
	v_add_co_ci_u32_e32 v10, vcc_lo, 0, v3, vcc_lo
	v_add_co_u32 v0, vcc_lo, v9, s6
	v_add_co_ci_u32_e32 v1, vcc_lo, s7, v10, vcc_lo
	v_cmp_eq_u64_e32 vcc_lo, 0, v[0:1]
	v_cndmask_b32_e32 v1, v1, v10, vcc_lo
	v_cndmask_b32_e32 v0, v0, v9, vcc_lo
	v_and_b32_e32 v3, v1, v3
	v_and_b32_e32 v2, v0, v2
	v_mul_lo_u32 v3, v3, 24
	v_mul_hi_u32 v9, v2, 24
	v_mul_lo_u32 v2, v2, 24
	v_add_nc_u32_e32 v3, v9, v3
	s_waitcnt vmcnt(0)
	v_add_co_u32 v4, vcc_lo, v4, v2
	v_mov_b32_e32 v2, v7
	v_add_co_ci_u32_e32 v5, vcc_lo, v5, v3, vcc_lo
	v_mov_b32_e32 v3, v8
	global_store_dwordx2 v[4:5], v[7:8], off
	s_waitcnt_vscnt null, 0x0
	global_atomic_cmpswap_x2 v[2:3], v6, v[0:3], s[38:39] offset:24 glc
	s_waitcnt vmcnt(0)
	v_cmp_ne_u64_e32 vcc_lo, v[2:3], v[7:8]
	s_and_b32 exec_lo, exec_lo, vcc_lo
	s_cbranch_execz .LBB6_667
; %bb.665:
	s_mov_b32 s4, 0
.LBB6_666:                              ; =>This Inner Loop Header: Depth=1
	s_sleep 1
	global_store_dwordx2 v[4:5], v[2:3], off
	s_waitcnt_vscnt null, 0x0
	global_atomic_cmpswap_x2 v[7:8], v6, v[0:3], s[38:39] offset:24 glc
	s_waitcnt vmcnt(0)
	v_cmp_eq_u64_e32 vcc_lo, v[7:8], v[2:3]
	v_mov_b32_e32 v2, v7
	v_mov_b32_e32 v3, v8
	s_or_b32 s4, vcc_lo, s4
	s_andn2_b32 exec_lo, exec_lo, s4
	s_cbranch_execnz .LBB6_666
.LBB6_667:
	s_or_b32 exec_lo, exec_lo, s5
.LBB6_668:
	v_readfirstlane_b32 s4, v42
	s_waitcnt vmcnt(0)
	v_mov_b32_e32 v6, 0
	v_mov_b32_e32 v7, 0
	v_cmp_eq_u32_e64 s4, s4, v42
	s_and_saveexec_b32 s5, s4
	s_cbranch_execz .LBB6_674
; %bb.669:
	v_mov_b32_e32 v0, 0
	s_mov_b32 s6, exec_lo
	global_load_dwordx2 v[3:4], v0, s[38:39] offset:24 glc dlc
	s_waitcnt vmcnt(0)
	buffer_gl1_inv
	buffer_gl0_inv
	s_clause 0x1
	global_load_dwordx2 v[1:2], v0, s[38:39] offset:40
	global_load_dwordx2 v[5:6], v0, s[38:39]
	s_waitcnt vmcnt(1)
	v_and_b32_e32 v2, v2, v4
	v_and_b32_e32 v1, v1, v3
	v_mul_lo_u32 v2, v2, 24
	v_mul_hi_u32 v7, v1, 24
	v_mul_lo_u32 v1, v1, 24
	v_add_nc_u32_e32 v2, v7, v2
	s_waitcnt vmcnt(0)
	v_add_co_u32 v1, vcc_lo, v5, v1
	v_add_co_ci_u32_e32 v2, vcc_lo, v6, v2, vcc_lo
	global_load_dwordx2 v[1:2], v[1:2], off glc dlc
	s_waitcnt vmcnt(0)
	global_atomic_cmpswap_x2 v[6:7], v0, v[1:4], s[38:39] offset:24 glc
	s_waitcnt vmcnt(0)
	buffer_gl1_inv
	buffer_gl0_inv
	v_cmpx_ne_u64_e64 v[6:7], v[3:4]
	s_cbranch_execz .LBB6_673
; %bb.670:
	s_mov_b32 s7, 0
.LBB6_671:                              ; =>This Inner Loop Header: Depth=1
	s_sleep 1
	s_clause 0x1
	global_load_dwordx2 v[1:2], v0, s[38:39] offset:40
	global_load_dwordx2 v[8:9], v0, s[38:39]
	v_mov_b32_e32 v3, v6
	v_mov_b32_e32 v4, v7
	s_waitcnt vmcnt(1)
	v_and_b32_e32 v1, v1, v3
	v_and_b32_e32 v2, v2, v4
	s_waitcnt vmcnt(0)
	v_mad_u64_u32 v[5:6], null, v1, 24, v[8:9]
	v_mov_b32_e32 v1, v6
	v_mad_u64_u32 v[1:2], null, v2, 24, v[1:2]
	v_mov_b32_e32 v6, v1
	global_load_dwordx2 v[1:2], v[5:6], off glc dlc
	s_waitcnt vmcnt(0)
	global_atomic_cmpswap_x2 v[6:7], v0, v[1:4], s[38:39] offset:24 glc
	s_waitcnt vmcnt(0)
	buffer_gl1_inv
	buffer_gl0_inv
	v_cmp_eq_u64_e32 vcc_lo, v[6:7], v[3:4]
	s_or_b32 s7, vcc_lo, s7
	s_andn2_b32 exec_lo, exec_lo, s7
	s_cbranch_execnz .LBB6_671
; %bb.672:
	s_or_b32 exec_lo, exec_lo, s7
.LBB6_673:
	s_or_b32 exec_lo, exec_lo, s6
.LBB6_674:
	s_or_b32 exec_lo, exec_lo, s5
	v_mov_b32_e32 v5, 0
	v_readfirstlane_b32 s6, v6
	v_readfirstlane_b32 s7, v7
	s_mov_b32 s5, exec_lo
	s_clause 0x1
	global_load_dwordx2 v[8:9], v5, s[38:39] offset:40
	global_load_dwordx4 v[0:3], v5, s[38:39]
	s_waitcnt vmcnt(1)
	v_readfirstlane_b32 s8, v8
	v_readfirstlane_b32 s9, v9
	s_and_b64 s[8:9], s[6:7], s[8:9]
	s_mul_i32 s10, s9, 24
	s_mul_hi_u32 s11, s8, 24
	s_mul_i32 s12, s8, 24
	s_add_i32 s11, s11, s10
	s_waitcnt vmcnt(0)
	v_add_co_u32 v8, vcc_lo, v0, s12
	v_add_co_ci_u32_e32 v9, vcc_lo, s11, v1, vcc_lo
	s_and_saveexec_b32 s10, s4
	s_cbranch_execz .LBB6_676
; %bb.675:
	v_mov_b32_e32 v4, s5
	v_mov_b32_e32 v6, 2
	;; [unrolled: 1-line block ×3, first 2 shown]
	global_store_dwordx4 v[8:9], v[4:7], off offset:8
.LBB6_676:
	s_or_b32 exec_lo, exec_lo, s10
	s_lshl_b64 s[8:9], s[8:9], 12
	v_mov_b32_e32 v4, 33
	v_add_co_u32 v2, vcc_lo, v2, s8
	v_add_co_ci_u32_e32 v3, vcc_lo, s9, v3, vcc_lo
	s_mov_b32 s8, 0
	v_add_co_u32 v10, vcc_lo, v2, v41
	s_mov_b32 s11, s8
	s_mov_b32 s9, s8
	;; [unrolled: 1-line block ×3, first 2 shown]
	v_mov_b32_e32 v6, v5
	v_mov_b32_e32 v7, v5
	v_readfirstlane_b32 s12, v2
	v_readfirstlane_b32 s13, v3
	v_mov_b32_e32 v15, s11
	v_add_co_ci_u32_e32 v11, vcc_lo, 0, v3, vcc_lo
	v_mov_b32_e32 v14, s10
	v_mov_b32_e32 v13, s9
	;; [unrolled: 1-line block ×3, first 2 shown]
	global_store_dwordx4 v41, v[4:7], s[12:13]
	global_store_dwordx4 v41, v[12:15], s[12:13] offset:16
	global_store_dwordx4 v41, v[12:15], s[12:13] offset:32
	;; [unrolled: 1-line block ×3, first 2 shown]
	s_and_saveexec_b32 s5, s4
	s_cbranch_execz .LBB6_684
; %bb.677:
	v_mov_b32_e32 v6, 0
	v_mov_b32_e32 v12, s6
	;; [unrolled: 1-line block ×3, first 2 shown]
	s_clause 0x1
	global_load_dwordx2 v[14:15], v6, s[38:39] offset:32 glc dlc
	global_load_dwordx2 v[2:3], v6, s[38:39] offset:40
	s_waitcnt vmcnt(0)
	v_readfirstlane_b32 s8, v2
	v_readfirstlane_b32 s9, v3
	s_and_b64 s[8:9], s[8:9], s[6:7]
	s_mul_i32 s9, s9, 24
	s_mul_hi_u32 s10, s8, 24
	s_mul_i32 s8, s8, 24
	s_add_i32 s10, s10, s9
	v_add_co_u32 v4, vcc_lo, v0, s8
	v_add_co_ci_u32_e32 v5, vcc_lo, s10, v1, vcc_lo
	s_mov_b32 s8, exec_lo
	global_store_dwordx2 v[4:5], v[14:15], off
	s_waitcnt_vscnt null, 0x0
	global_atomic_cmpswap_x2 v[2:3], v6, v[12:15], s[38:39] offset:32 glc
	s_waitcnt vmcnt(0)
	v_cmpx_ne_u64_e64 v[2:3], v[14:15]
	s_cbranch_execz .LBB6_680
; %bb.678:
	s_mov_b32 s9, 0
.LBB6_679:                              ; =>This Inner Loop Header: Depth=1
	v_mov_b32_e32 v0, s6
	v_mov_b32_e32 v1, s7
	s_sleep 1
	global_store_dwordx2 v[4:5], v[2:3], off
	s_waitcnt_vscnt null, 0x0
	global_atomic_cmpswap_x2 v[0:1], v6, v[0:3], s[38:39] offset:32 glc
	s_waitcnt vmcnt(0)
	v_cmp_eq_u64_e32 vcc_lo, v[0:1], v[2:3]
	v_mov_b32_e32 v3, v1
	v_mov_b32_e32 v2, v0
	s_or_b32 s9, vcc_lo, s9
	s_andn2_b32 exec_lo, exec_lo, s9
	s_cbranch_execnz .LBB6_679
.LBB6_680:
	s_or_b32 exec_lo, exec_lo, s8
	v_mov_b32_e32 v3, 0
	s_mov_b32 s9, exec_lo
	s_mov_b32 s8, exec_lo
	v_mbcnt_lo_u32_b32 v2, s9, 0
	global_load_dwordx2 v[0:1], v3, s[38:39] offset:16
	v_cmpx_eq_u32_e32 0, v2
	s_cbranch_execz .LBB6_682
; %bb.681:
	s_bcnt1_i32_b32 s9, s9
	v_mov_b32_e32 v2, s9
	s_waitcnt vmcnt(0)
	global_atomic_add_x2 v[0:1], v[2:3], off offset:8
.LBB6_682:
	s_or_b32 exec_lo, exec_lo, s8
	s_waitcnt vmcnt(0)
	global_load_dwordx2 v[2:3], v[0:1], off offset:16
	s_waitcnt vmcnt(0)
	v_cmp_eq_u64_e32 vcc_lo, 0, v[2:3]
	s_cbranch_vccnz .LBB6_684
; %bb.683:
	global_load_dword v0, v[0:1], off offset:24
	v_mov_b32_e32 v1, 0
	s_waitcnt vmcnt(0)
	v_and_b32_e32 v4, 0x7fffff, v0
	s_waitcnt_vscnt null, 0x0
	global_store_dwordx2 v[2:3], v[0:1], off
	v_readfirstlane_b32 m0, v4
	s_sendmsg sendmsg(MSG_INTERRUPT)
.LBB6_684:
	s_or_b32 exec_lo, exec_lo, s5
	s_branch .LBB6_688
	.p2align	6
.LBB6_685:                              ;   in Loop: Header=BB6_688 Depth=1
	s_or_b32 exec_lo, exec_lo, s5
	v_readfirstlane_b32 s5, v0
	s_cmp_eq_u32 s5, 0
	s_cbranch_scc1 .LBB6_687
; %bb.686:                              ;   in Loop: Header=BB6_688 Depth=1
	s_sleep 1
	s_cbranch_execnz .LBB6_688
	s_branch .LBB6_690
	.p2align	6
.LBB6_687:
	s_branch .LBB6_690
.LBB6_688:                              ; =>This Inner Loop Header: Depth=1
	v_mov_b32_e32 v0, 1
	s_and_saveexec_b32 s5, s4
	s_cbranch_execz .LBB6_685
; %bb.689:                              ;   in Loop: Header=BB6_688 Depth=1
	global_load_dword v0, v[8:9], off offset:20 glc dlc
	s_waitcnt vmcnt(0)
	buffer_gl1_inv
	buffer_gl0_inv
	v_and_b32_e32 v0, 1, v0
	s_branch .LBB6_685
.LBB6_690:
	global_load_dwordx2 v[0:1], v[10:11], off
	s_and_saveexec_b32 s5, s4
	s_cbranch_execz .LBB6_694
; %bb.691:
	v_mov_b32_e32 v8, 0
	s_clause 0x2
	global_load_dwordx2 v[4:5], v8, s[38:39] offset:40
	global_load_dwordx2 v[9:10], v8, s[38:39] offset:24 glc dlc
	global_load_dwordx2 v[6:7], v8, s[38:39]
	s_waitcnt vmcnt(2)
	v_add_co_u32 v11, vcc_lo, v4, 1
	v_add_co_ci_u32_e32 v12, vcc_lo, 0, v5, vcc_lo
	v_add_co_u32 v2, vcc_lo, v11, s6
	v_add_co_ci_u32_e32 v3, vcc_lo, s7, v12, vcc_lo
	v_cmp_eq_u64_e32 vcc_lo, 0, v[2:3]
	v_cndmask_b32_e32 v3, v3, v12, vcc_lo
	v_cndmask_b32_e32 v2, v2, v11, vcc_lo
	v_and_b32_e32 v5, v3, v5
	v_and_b32_e32 v4, v2, v4
	v_mul_lo_u32 v5, v5, 24
	v_mul_hi_u32 v11, v4, 24
	v_mul_lo_u32 v4, v4, 24
	v_add_nc_u32_e32 v5, v11, v5
	s_waitcnt vmcnt(0)
	v_add_co_u32 v6, vcc_lo, v6, v4
	v_mov_b32_e32 v4, v9
	v_add_co_ci_u32_e32 v7, vcc_lo, v7, v5, vcc_lo
	v_mov_b32_e32 v5, v10
	global_store_dwordx2 v[6:7], v[9:10], off
	s_waitcnt_vscnt null, 0x0
	global_atomic_cmpswap_x2 v[4:5], v8, v[2:5], s[38:39] offset:24 glc
	s_waitcnt vmcnt(0)
	v_cmp_ne_u64_e32 vcc_lo, v[4:5], v[9:10]
	s_and_b32 exec_lo, exec_lo, vcc_lo
	s_cbranch_execz .LBB6_694
; %bb.692:
	s_mov_b32 s4, 0
.LBB6_693:                              ; =>This Inner Loop Header: Depth=1
	s_sleep 1
	global_store_dwordx2 v[6:7], v[4:5], off
	s_waitcnt_vscnt null, 0x0
	global_atomic_cmpswap_x2 v[9:10], v8, v[2:5], s[38:39] offset:24 glc
	s_waitcnt vmcnt(0)
	v_cmp_eq_u64_e32 vcc_lo, v[9:10], v[4:5]
	v_mov_b32_e32 v4, v9
	v_mov_b32_e32 v5, v10
	s_or_b32 s4, vcc_lo, s4
	s_andn2_b32 exec_lo, exec_lo, s4
	s_cbranch_execnz .LBB6_693
.LBB6_694:
	s_or_b32 exec_lo, exec_lo, s5
	s_and_b32 vcc_lo, exec_lo, s42
	s_cbranch_vccz .LBB6_773
; %bb.695:
	s_waitcnt vmcnt(0)
	v_and_b32_e32 v31, 2, v0
	v_mov_b32_e32 v6, 0
	v_and_b32_e32 v2, -3, v0
	v_mov_b32_e32 v3, v1
	v_mov_b32_e32 v7, 2
	;; [unrolled: 1-line block ×3, first 2 shown]
	s_mov_b64 s[8:9], 3
	s_getpc_b64 s[6:7]
	s_add_u32 s6, s6, .str.9@rel32@lo+4
	s_addc_u32 s7, s7, .str.9@rel32@hi+12
	s_branch .LBB6_697
.LBB6_696:                              ;   in Loop: Header=BB6_697 Depth=1
	s_or_b32 exec_lo, exec_lo, s5
	s_sub_u32 s8, s8, s10
	s_subb_u32 s9, s9, s11
	s_add_u32 s6, s6, s10
	s_addc_u32 s7, s7, s11
	s_cmp_lg_u64 s[8:9], 0
	s_cbranch_scc0 .LBB6_772
.LBB6_697:                              ; =>This Loop Header: Depth=1
                                        ;     Child Loop BB6_706 Depth 2
                                        ;     Child Loop BB6_702 Depth 2
	;; [unrolled: 1-line block ×11, first 2 shown]
	v_cmp_lt_u64_e64 s4, s[8:9], 56
	v_cmp_gt_u64_e64 s5, s[8:9], 7
                                        ; implicit-def: $vgpr11_vgpr12
                                        ; implicit-def: $sgpr17
	s_and_b32 s4, s4, exec_lo
	s_cselect_b32 s11, s9, 0
	s_cselect_b32 s10, s8, 56
	s_and_b32 vcc_lo, exec_lo, s5
	s_mov_b32 s4, -1
	s_cbranch_vccz .LBB6_704
; %bb.698:                              ;   in Loop: Header=BB6_697 Depth=1
	s_andn2_b32 vcc_lo, exec_lo, s4
	s_mov_b64 s[4:5], s[6:7]
	s_cbranch_vccz .LBB6_708
.LBB6_699:                              ;   in Loop: Header=BB6_697 Depth=1
	s_cmp_gt_u32 s17, 7
	s_cbranch_scc1 .LBB6_709
.LBB6_700:                              ;   in Loop: Header=BB6_697 Depth=1
	v_mov_b32_e32 v13, 0
	v_mov_b32_e32 v14, 0
	s_cmp_eq_u32 s17, 0
	s_cbranch_scc1 .LBB6_703
; %bb.701:                              ;   in Loop: Header=BB6_697 Depth=1
	s_mov_b64 s[12:13], 0
	s_mov_b64 s[14:15], 0
.LBB6_702:                              ;   Parent Loop BB6_697 Depth=1
                                        ; =>  This Inner Loop Header: Depth=2
	s_add_u32 s18, s4, s14
	s_addc_u32 s19, s5, s15
	s_add_u32 s14, s14, 1
	global_load_ubyte v4, v6, s[18:19]
	s_addc_u32 s15, s15, 0
	s_waitcnt vmcnt(0)
	v_and_b32_e32 v5, 0xffff, v4
	v_lshlrev_b64 v[4:5], s12, v[5:6]
	s_add_u32 s12, s12, 8
	s_addc_u32 s13, s13, 0
	s_cmp_lg_u32 s17, s14
	v_or_b32_e32 v13, v4, v13
	v_or_b32_e32 v14, v5, v14
	s_cbranch_scc1 .LBB6_702
.LBB6_703:                              ;   in Loop: Header=BB6_697 Depth=1
	s_mov_b32 s18, 0
	s_cbranch_execz .LBB6_710
	s_branch .LBB6_711
.LBB6_704:                              ;   in Loop: Header=BB6_697 Depth=1
	v_mov_b32_e32 v11, 0
	v_mov_b32_e32 v12, 0
	s_cmp_eq_u64 s[8:9], 0
	s_mov_b64 s[4:5], 0
	s_cbranch_scc1 .LBB6_707
; %bb.705:                              ;   in Loop: Header=BB6_697 Depth=1
	v_mov_b32_e32 v11, 0
	v_mov_b32_e32 v12, 0
	s_lshl_b64 s[12:13], s[10:11], 3
	s_mov_b64 s[14:15], s[6:7]
.LBB6_706:                              ;   Parent Loop BB6_697 Depth=1
                                        ; =>  This Inner Loop Header: Depth=2
	global_load_ubyte v4, v6, s[14:15]
	s_waitcnt vmcnt(0)
	v_and_b32_e32 v5, 0xffff, v4
	v_lshlrev_b64 v[4:5], s4, v[5:6]
	s_add_u32 s4, s4, 8
	s_addc_u32 s5, s5, 0
	s_add_u32 s14, s14, 1
	s_addc_u32 s15, s15, 0
	s_cmp_lg_u32 s12, s4
	v_or_b32_e32 v11, v4, v11
	v_or_b32_e32 v12, v5, v12
	s_cbranch_scc1 .LBB6_706
.LBB6_707:                              ;   in Loop: Header=BB6_697 Depth=1
	s_mov_b32 s17, 0
	s_mov_b64 s[4:5], s[6:7]
	s_cbranch_execnz .LBB6_699
.LBB6_708:                              ;   in Loop: Header=BB6_697 Depth=1
	global_load_dwordx2 v[11:12], v6, s[6:7]
	s_add_i32 s17, s10, -8
	s_add_u32 s4, s6, 8
	s_addc_u32 s5, s7, 0
	s_cmp_gt_u32 s17, 7
	s_cbranch_scc0 .LBB6_700
.LBB6_709:                              ;   in Loop: Header=BB6_697 Depth=1
                                        ; implicit-def: $vgpr13_vgpr14
                                        ; implicit-def: $sgpr18
.LBB6_710:                              ;   in Loop: Header=BB6_697 Depth=1
	global_load_dwordx2 v[13:14], v6, s[4:5]
	s_add_i32 s18, s17, -8
	s_add_u32 s4, s4, 8
	s_addc_u32 s5, s5, 0
.LBB6_711:                              ;   in Loop: Header=BB6_697 Depth=1
	s_cmp_gt_u32 s18, 7
	s_cbranch_scc1 .LBB6_716
; %bb.712:                              ;   in Loop: Header=BB6_697 Depth=1
	v_mov_b32_e32 v15, 0
	v_mov_b32_e32 v16, 0
	s_cmp_eq_u32 s18, 0
	s_cbranch_scc1 .LBB6_715
; %bb.713:                              ;   in Loop: Header=BB6_697 Depth=1
	s_mov_b64 s[12:13], 0
	s_mov_b64 s[14:15], 0
.LBB6_714:                              ;   Parent Loop BB6_697 Depth=1
                                        ; =>  This Inner Loop Header: Depth=2
	s_add_u32 s20, s4, s14
	s_addc_u32 s21, s5, s15
	s_add_u32 s14, s14, 1
	global_load_ubyte v4, v6, s[20:21]
	s_addc_u32 s15, s15, 0
	s_waitcnt vmcnt(0)
	v_and_b32_e32 v5, 0xffff, v4
	v_lshlrev_b64 v[4:5], s12, v[5:6]
	s_add_u32 s12, s12, 8
	s_addc_u32 s13, s13, 0
	s_cmp_lg_u32 s18, s14
	v_or_b32_e32 v15, v4, v15
	v_or_b32_e32 v16, v5, v16
	s_cbranch_scc1 .LBB6_714
.LBB6_715:                              ;   in Loop: Header=BB6_697 Depth=1
	s_mov_b32 s17, 0
	s_cbranch_execz .LBB6_717
	s_branch .LBB6_718
.LBB6_716:                              ;   in Loop: Header=BB6_697 Depth=1
                                        ; implicit-def: $sgpr17
.LBB6_717:                              ;   in Loop: Header=BB6_697 Depth=1
	global_load_dwordx2 v[15:16], v6, s[4:5]
	s_add_i32 s17, s18, -8
	s_add_u32 s4, s4, 8
	s_addc_u32 s5, s5, 0
.LBB6_718:                              ;   in Loop: Header=BB6_697 Depth=1
	s_cmp_gt_u32 s17, 7
	s_cbranch_scc1 .LBB6_723
; %bb.719:                              ;   in Loop: Header=BB6_697 Depth=1
	v_mov_b32_e32 v17, 0
	v_mov_b32_e32 v18, 0
	s_cmp_eq_u32 s17, 0
	s_cbranch_scc1 .LBB6_722
; %bb.720:                              ;   in Loop: Header=BB6_697 Depth=1
	s_mov_b64 s[12:13], 0
	s_mov_b64 s[14:15], 0
.LBB6_721:                              ;   Parent Loop BB6_697 Depth=1
                                        ; =>  This Inner Loop Header: Depth=2
	s_add_u32 s18, s4, s14
	s_addc_u32 s19, s5, s15
	s_add_u32 s14, s14, 1
	global_load_ubyte v4, v6, s[18:19]
	s_addc_u32 s15, s15, 0
	s_waitcnt vmcnt(0)
	v_and_b32_e32 v5, 0xffff, v4
	v_lshlrev_b64 v[4:5], s12, v[5:6]
	s_add_u32 s12, s12, 8
	s_addc_u32 s13, s13, 0
	s_cmp_lg_u32 s17, s14
	v_or_b32_e32 v17, v4, v17
	v_or_b32_e32 v18, v5, v18
	s_cbranch_scc1 .LBB6_721
.LBB6_722:                              ;   in Loop: Header=BB6_697 Depth=1
	s_mov_b32 s18, 0
	s_cbranch_execz .LBB6_724
	s_branch .LBB6_725
.LBB6_723:                              ;   in Loop: Header=BB6_697 Depth=1
                                        ; implicit-def: $vgpr17_vgpr18
                                        ; implicit-def: $sgpr18
.LBB6_724:                              ;   in Loop: Header=BB6_697 Depth=1
	global_load_dwordx2 v[17:18], v6, s[4:5]
	s_add_i32 s18, s17, -8
	s_add_u32 s4, s4, 8
	s_addc_u32 s5, s5, 0
.LBB6_725:                              ;   in Loop: Header=BB6_697 Depth=1
	s_cmp_gt_u32 s18, 7
	s_cbranch_scc1 .LBB6_730
; %bb.726:                              ;   in Loop: Header=BB6_697 Depth=1
	v_mov_b32_e32 v19, 0
	v_mov_b32_e32 v20, 0
	s_cmp_eq_u32 s18, 0
	s_cbranch_scc1 .LBB6_729
; %bb.727:                              ;   in Loop: Header=BB6_697 Depth=1
	s_mov_b64 s[12:13], 0
	s_mov_b64 s[14:15], 0
.LBB6_728:                              ;   Parent Loop BB6_697 Depth=1
                                        ; =>  This Inner Loop Header: Depth=2
	s_add_u32 s20, s4, s14
	s_addc_u32 s21, s5, s15
	s_add_u32 s14, s14, 1
	global_load_ubyte v4, v6, s[20:21]
	s_addc_u32 s15, s15, 0
	s_waitcnt vmcnt(0)
	v_and_b32_e32 v5, 0xffff, v4
	v_lshlrev_b64 v[4:5], s12, v[5:6]
	s_add_u32 s12, s12, 8
	s_addc_u32 s13, s13, 0
	s_cmp_lg_u32 s18, s14
	v_or_b32_e32 v19, v4, v19
	v_or_b32_e32 v20, v5, v20
	s_cbranch_scc1 .LBB6_728
.LBB6_729:                              ;   in Loop: Header=BB6_697 Depth=1
	s_mov_b32 s17, 0
	s_cbranch_execz .LBB6_731
	s_branch .LBB6_732
.LBB6_730:                              ;   in Loop: Header=BB6_697 Depth=1
                                        ; implicit-def: $sgpr17
.LBB6_731:                              ;   in Loop: Header=BB6_697 Depth=1
	global_load_dwordx2 v[19:20], v6, s[4:5]
	s_add_i32 s17, s18, -8
	s_add_u32 s4, s4, 8
	s_addc_u32 s5, s5, 0
.LBB6_732:                              ;   in Loop: Header=BB6_697 Depth=1
	s_cmp_gt_u32 s17, 7
	s_cbranch_scc1 .LBB6_737
; %bb.733:                              ;   in Loop: Header=BB6_697 Depth=1
	v_mov_b32_e32 v21, 0
	v_mov_b32_e32 v22, 0
	s_cmp_eq_u32 s17, 0
	s_cbranch_scc1 .LBB6_736
; %bb.734:                              ;   in Loop: Header=BB6_697 Depth=1
	s_mov_b64 s[12:13], 0
	s_mov_b64 s[14:15], 0
.LBB6_735:                              ;   Parent Loop BB6_697 Depth=1
                                        ; =>  This Inner Loop Header: Depth=2
	s_add_u32 s18, s4, s14
	s_addc_u32 s19, s5, s15
	s_add_u32 s14, s14, 1
	global_load_ubyte v4, v6, s[18:19]
	s_addc_u32 s15, s15, 0
	s_waitcnt vmcnt(0)
	v_and_b32_e32 v5, 0xffff, v4
	v_lshlrev_b64 v[4:5], s12, v[5:6]
	s_add_u32 s12, s12, 8
	s_addc_u32 s13, s13, 0
	s_cmp_lg_u32 s17, s14
	v_or_b32_e32 v21, v4, v21
	v_or_b32_e32 v22, v5, v22
	s_cbranch_scc1 .LBB6_735
.LBB6_736:                              ;   in Loop: Header=BB6_697 Depth=1
	s_mov_b32 s18, 0
	s_cbranch_execz .LBB6_738
	s_branch .LBB6_739
.LBB6_737:                              ;   in Loop: Header=BB6_697 Depth=1
                                        ; implicit-def: $vgpr21_vgpr22
                                        ; implicit-def: $sgpr18
.LBB6_738:                              ;   in Loop: Header=BB6_697 Depth=1
	global_load_dwordx2 v[21:22], v6, s[4:5]
	s_add_i32 s18, s17, -8
	s_add_u32 s4, s4, 8
	s_addc_u32 s5, s5, 0
.LBB6_739:                              ;   in Loop: Header=BB6_697 Depth=1
	s_cmp_gt_u32 s18, 7
	s_cbranch_scc1 .LBB6_744
; %bb.740:                              ;   in Loop: Header=BB6_697 Depth=1
	v_mov_b32_e32 v23, 0
	v_mov_b32_e32 v24, 0
	s_cmp_eq_u32 s18, 0
	s_cbranch_scc1 .LBB6_743
; %bb.741:                              ;   in Loop: Header=BB6_697 Depth=1
	s_mov_b64 s[12:13], 0
	s_mov_b64 s[14:15], s[4:5]
.LBB6_742:                              ;   Parent Loop BB6_697 Depth=1
                                        ; =>  This Inner Loop Header: Depth=2
	global_load_ubyte v4, v6, s[14:15]
	s_add_i32 s18, s18, -1
	s_waitcnt vmcnt(0)
	v_and_b32_e32 v5, 0xffff, v4
	v_lshlrev_b64 v[4:5], s12, v[5:6]
	s_add_u32 s12, s12, 8
	s_addc_u32 s13, s13, 0
	s_add_u32 s14, s14, 1
	s_addc_u32 s15, s15, 0
	s_cmp_lg_u32 s18, 0
	v_or_b32_e32 v23, v4, v23
	v_or_b32_e32 v24, v5, v24
	s_cbranch_scc1 .LBB6_742
.LBB6_743:                              ;   in Loop: Header=BB6_697 Depth=1
	s_cbranch_execz .LBB6_745
	s_branch .LBB6_746
.LBB6_744:                              ;   in Loop: Header=BB6_697 Depth=1
.LBB6_745:                              ;   in Loop: Header=BB6_697 Depth=1
	global_load_dwordx2 v[23:24], v6, s[4:5]
.LBB6_746:                              ;   in Loop: Header=BB6_697 Depth=1
	v_readfirstlane_b32 s4, v42
	s_waitcnt vmcnt(0)
	v_mov_b32_e32 v4, 0
	v_mov_b32_e32 v5, 0
	v_cmp_eq_u32_e64 s4, s4, v42
	s_and_saveexec_b32 s5, s4
	s_cbranch_execz .LBB6_752
; %bb.747:                              ;   in Loop: Header=BB6_697 Depth=1
	global_load_dwordx2 v[27:28], v6, s[38:39] offset:24 glc dlc
	s_waitcnt vmcnt(0)
	buffer_gl1_inv
	buffer_gl0_inv
	s_clause 0x1
	global_load_dwordx2 v[4:5], v6, s[38:39] offset:40
	global_load_dwordx2 v[9:10], v6, s[38:39]
	s_mov_b32 s12, exec_lo
	s_waitcnt vmcnt(1)
	v_and_b32_e32 v5, v5, v28
	v_and_b32_e32 v4, v4, v27
	v_mul_lo_u32 v5, v5, 24
	v_mul_hi_u32 v25, v4, 24
	v_mul_lo_u32 v4, v4, 24
	v_add_nc_u32_e32 v5, v25, v5
	s_waitcnt vmcnt(0)
	v_add_co_u32 v4, vcc_lo, v9, v4
	v_add_co_ci_u32_e32 v5, vcc_lo, v10, v5, vcc_lo
	global_load_dwordx2 v[25:26], v[4:5], off glc dlc
	s_waitcnt vmcnt(0)
	global_atomic_cmpswap_x2 v[4:5], v6, v[25:28], s[38:39] offset:24 glc
	s_waitcnt vmcnt(0)
	buffer_gl1_inv
	buffer_gl0_inv
	v_cmpx_ne_u64_e64 v[4:5], v[27:28]
	s_cbranch_execz .LBB6_751
; %bb.748:                              ;   in Loop: Header=BB6_697 Depth=1
	s_mov_b32 s13, 0
	.p2align	6
.LBB6_749:                              ;   Parent Loop BB6_697 Depth=1
                                        ; =>  This Inner Loop Header: Depth=2
	s_sleep 1
	s_clause 0x1
	global_load_dwordx2 v[9:10], v6, s[38:39] offset:40
	global_load_dwordx2 v[25:26], v6, s[38:39]
	v_mov_b32_e32 v28, v5
	v_mov_b32_e32 v27, v4
	s_waitcnt vmcnt(1)
	v_and_b32_e32 v4, v9, v27
	v_and_b32_e32 v9, v10, v28
	s_waitcnt vmcnt(0)
	v_mad_u64_u32 v[4:5], null, v4, 24, v[25:26]
	v_mad_u64_u32 v[9:10], null, v9, 24, v[5:6]
	v_mov_b32_e32 v5, v9
	global_load_dwordx2 v[25:26], v[4:5], off glc dlc
	s_waitcnt vmcnt(0)
	global_atomic_cmpswap_x2 v[4:5], v6, v[25:28], s[38:39] offset:24 glc
	s_waitcnt vmcnt(0)
	buffer_gl1_inv
	buffer_gl0_inv
	v_cmp_eq_u64_e32 vcc_lo, v[4:5], v[27:28]
	s_or_b32 s13, vcc_lo, s13
	s_andn2_b32 exec_lo, exec_lo, s13
	s_cbranch_execnz .LBB6_749
; %bb.750:                              ;   in Loop: Header=BB6_697 Depth=1
	s_or_b32 exec_lo, exec_lo, s13
.LBB6_751:                              ;   in Loop: Header=BB6_697 Depth=1
	s_or_b32 exec_lo, exec_lo, s12
.LBB6_752:                              ;   in Loop: Header=BB6_697 Depth=1
	s_or_b32 exec_lo, exec_lo, s5
	s_clause 0x1
	global_load_dwordx2 v[9:10], v6, s[38:39] offset:40
	global_load_dwordx4 v[25:28], v6, s[38:39]
	v_readfirstlane_b32 s12, v4
	v_readfirstlane_b32 s13, v5
	s_mov_b32 s5, exec_lo
	s_waitcnt vmcnt(1)
	v_readfirstlane_b32 s14, v9
	v_readfirstlane_b32 s15, v10
	s_and_b64 s[14:15], s[12:13], s[14:15]
	s_mul_i32 s17, s15, 24
	s_mul_hi_u32 s18, s14, 24
	s_mul_i32 s19, s14, 24
	s_add_i32 s18, s18, s17
	s_waitcnt vmcnt(0)
	v_add_co_u32 v29, vcc_lo, v25, s19
	v_add_co_ci_u32_e32 v30, vcc_lo, s18, v26, vcc_lo
	s_and_saveexec_b32 s17, s4
	s_cbranch_execz .LBB6_754
; %bb.753:                              ;   in Loop: Header=BB6_697 Depth=1
	v_mov_b32_e32 v5, s5
	global_store_dwordx4 v[29:30], v[5:8], off offset:8
.LBB6_754:                              ;   in Loop: Header=BB6_697 Depth=1
	s_or_b32 exec_lo, exec_lo, s17
	s_lshl_b64 s[14:15], s[14:15], 12
	v_cmp_gt_u64_e64 vcc_lo, s[8:9], 56
	v_or_b32_e32 v5, v2, v31
	v_add_co_u32 v27, s5, v27, s14
	v_add_co_ci_u32_e64 v28, s5, s15, v28, s5
	s_lshl_b32 s5, s10, 2
	v_or_b32_e32 v4, 0, v3
	v_cndmask_b32_e32 v2, v5, v2, vcc_lo
	s_add_i32 s5, s5, 28
	v_readfirstlane_b32 s14, v27
	s_and_b32 s5, s5, 0x1e0
	v_cndmask_b32_e32 v10, v4, v3, vcc_lo
	v_readfirstlane_b32 s15, v28
	v_and_or_b32 v9, 0xffffff1f, v2, s5
	global_store_dwordx4 v41, v[9:12], s[14:15]
	global_store_dwordx4 v41, v[13:16], s[14:15] offset:16
	global_store_dwordx4 v41, v[17:20], s[14:15] offset:32
	;; [unrolled: 1-line block ×3, first 2 shown]
	s_and_saveexec_b32 s5, s4
	s_cbranch_execz .LBB6_762
; %bb.755:                              ;   in Loop: Header=BB6_697 Depth=1
	s_clause 0x1
	global_load_dwordx2 v[13:14], v6, s[38:39] offset:32 glc dlc
	global_load_dwordx2 v[2:3], v6, s[38:39] offset:40
	v_mov_b32_e32 v11, s12
	v_mov_b32_e32 v12, s13
	s_waitcnt vmcnt(0)
	v_readfirstlane_b32 s14, v2
	v_readfirstlane_b32 s15, v3
	s_and_b64 s[14:15], s[14:15], s[12:13]
	s_mul_i32 s15, s15, 24
	s_mul_hi_u32 s17, s14, 24
	s_mul_i32 s14, s14, 24
	s_add_i32 s17, s17, s15
	v_add_co_u32 v9, vcc_lo, v25, s14
	v_add_co_ci_u32_e32 v10, vcc_lo, s17, v26, vcc_lo
	s_mov_b32 s14, exec_lo
	global_store_dwordx2 v[9:10], v[13:14], off
	s_waitcnt_vscnt null, 0x0
	global_atomic_cmpswap_x2 v[4:5], v6, v[11:14], s[38:39] offset:32 glc
	s_waitcnt vmcnt(0)
	v_cmpx_ne_u64_e64 v[4:5], v[13:14]
	s_cbranch_execz .LBB6_758
; %bb.756:                              ;   in Loop: Header=BB6_697 Depth=1
	s_mov_b32 s15, 0
.LBB6_757:                              ;   Parent Loop BB6_697 Depth=1
                                        ; =>  This Inner Loop Header: Depth=2
	v_mov_b32_e32 v2, s12
	v_mov_b32_e32 v3, s13
	s_sleep 1
	global_store_dwordx2 v[9:10], v[4:5], off
	s_waitcnt_vscnt null, 0x0
	global_atomic_cmpswap_x2 v[2:3], v6, v[2:5], s[38:39] offset:32 glc
	s_waitcnt vmcnt(0)
	v_cmp_eq_u64_e32 vcc_lo, v[2:3], v[4:5]
	v_mov_b32_e32 v5, v3
	v_mov_b32_e32 v4, v2
	s_or_b32 s15, vcc_lo, s15
	s_andn2_b32 exec_lo, exec_lo, s15
	s_cbranch_execnz .LBB6_757
.LBB6_758:                              ;   in Loop: Header=BB6_697 Depth=1
	s_or_b32 exec_lo, exec_lo, s14
	global_load_dwordx2 v[2:3], v6, s[38:39] offset:16
	s_mov_b32 s15, exec_lo
	s_mov_b32 s14, exec_lo
	v_mbcnt_lo_u32_b32 v4, s15, 0
	v_cmpx_eq_u32_e32 0, v4
	s_cbranch_execz .LBB6_760
; %bb.759:                              ;   in Loop: Header=BB6_697 Depth=1
	s_bcnt1_i32_b32 s15, s15
	v_mov_b32_e32 v5, s15
	s_waitcnt vmcnt(0)
	global_atomic_add_x2 v[2:3], v[5:6], off offset:8
.LBB6_760:                              ;   in Loop: Header=BB6_697 Depth=1
	s_or_b32 exec_lo, exec_lo, s14
	s_waitcnt vmcnt(0)
	global_load_dwordx2 v[9:10], v[2:3], off offset:16
	s_waitcnt vmcnt(0)
	v_cmp_eq_u64_e32 vcc_lo, 0, v[9:10]
	s_cbranch_vccnz .LBB6_762
; %bb.761:                              ;   in Loop: Header=BB6_697 Depth=1
	global_load_dword v5, v[2:3], off offset:24
	s_waitcnt vmcnt(0)
	v_and_b32_e32 v2, 0x7fffff, v5
	s_waitcnt_vscnt null, 0x0
	global_store_dwordx2 v[9:10], v[5:6], off
	v_readfirstlane_b32 m0, v2
	s_sendmsg sendmsg(MSG_INTERRUPT)
.LBB6_762:                              ;   in Loop: Header=BB6_697 Depth=1
	s_or_b32 exec_lo, exec_lo, s5
	v_add_co_u32 v2, vcc_lo, v27, v41
	v_add_co_ci_u32_e32 v3, vcc_lo, 0, v28, vcc_lo
	s_branch .LBB6_766
	.p2align	6
.LBB6_763:                              ;   in Loop: Header=BB6_766 Depth=2
	s_or_b32 exec_lo, exec_lo, s5
	v_readfirstlane_b32 s5, v4
	s_cmp_eq_u32 s5, 0
	s_cbranch_scc1 .LBB6_765
; %bb.764:                              ;   in Loop: Header=BB6_766 Depth=2
	s_sleep 1
	s_cbranch_execnz .LBB6_766
	s_branch .LBB6_768
	.p2align	6
.LBB6_765:                              ;   in Loop: Header=BB6_697 Depth=1
	s_branch .LBB6_768
.LBB6_766:                              ;   Parent Loop BB6_697 Depth=1
                                        ; =>  This Inner Loop Header: Depth=2
	v_mov_b32_e32 v4, 1
	s_and_saveexec_b32 s5, s4
	s_cbranch_execz .LBB6_763
; %bb.767:                              ;   in Loop: Header=BB6_766 Depth=2
	global_load_dword v4, v[29:30], off offset:20 glc dlc
	s_waitcnt vmcnt(0)
	buffer_gl1_inv
	buffer_gl0_inv
	v_and_b32_e32 v4, 1, v4
	s_branch .LBB6_763
.LBB6_768:                              ;   in Loop: Header=BB6_697 Depth=1
	global_load_dwordx4 v[2:5], v[2:3], off
	s_and_saveexec_b32 s5, s4
	s_cbranch_execz .LBB6_696
; %bb.769:                              ;   in Loop: Header=BB6_697 Depth=1
	s_clause 0x2
	global_load_dwordx2 v[4:5], v6, s[38:39] offset:40
	global_load_dwordx2 v[13:14], v6, s[38:39] offset:24 glc dlc
	global_load_dwordx2 v[11:12], v6, s[38:39]
	s_waitcnt vmcnt(2)
	v_add_co_u32 v15, vcc_lo, v4, 1
	v_add_co_ci_u32_e32 v16, vcc_lo, 0, v5, vcc_lo
	v_add_co_u32 v9, vcc_lo, v15, s12
	v_add_co_ci_u32_e32 v10, vcc_lo, s13, v16, vcc_lo
	v_cmp_eq_u64_e32 vcc_lo, 0, v[9:10]
	v_cndmask_b32_e32 v10, v10, v16, vcc_lo
	v_cndmask_b32_e32 v9, v9, v15, vcc_lo
	v_and_b32_e32 v5, v10, v5
	v_and_b32_e32 v4, v9, v4
	v_mul_lo_u32 v5, v5, 24
	v_mul_hi_u32 v15, v4, 24
	v_mul_lo_u32 v4, v4, 24
	v_add_nc_u32_e32 v5, v15, v5
	s_waitcnt vmcnt(0)
	v_add_co_u32 v4, vcc_lo, v11, v4
	v_mov_b32_e32 v11, v13
	v_add_co_ci_u32_e32 v5, vcc_lo, v12, v5, vcc_lo
	v_mov_b32_e32 v12, v14
	global_store_dwordx2 v[4:5], v[13:14], off
	s_waitcnt_vscnt null, 0x0
	global_atomic_cmpswap_x2 v[11:12], v6, v[9:12], s[38:39] offset:24 glc
	s_waitcnt vmcnt(0)
	v_cmp_ne_u64_e32 vcc_lo, v[11:12], v[13:14]
	s_and_b32 exec_lo, exec_lo, vcc_lo
	s_cbranch_execz .LBB6_696
; %bb.770:                              ;   in Loop: Header=BB6_697 Depth=1
	s_mov_b32 s4, 0
.LBB6_771:                              ;   Parent Loop BB6_697 Depth=1
                                        ; =>  This Inner Loop Header: Depth=2
	s_sleep 1
	global_store_dwordx2 v[4:5], v[11:12], off
	s_waitcnt_vscnt null, 0x0
	global_atomic_cmpswap_x2 v[13:14], v6, v[9:12], s[38:39] offset:24 glc
	s_waitcnt vmcnt(0)
	v_cmp_eq_u64_e32 vcc_lo, v[13:14], v[11:12]
	v_mov_b32_e32 v11, v13
	v_mov_b32_e32 v12, v14
	s_or_b32 s4, vcc_lo, s4
	s_andn2_b32 exec_lo, exec_lo, s4
	s_cbranch_execnz .LBB6_771
	s_branch .LBB6_696
.LBB6_772:
	s_mov_b32 s4, 0
	s_branch .LBB6_774
.LBB6_773:
	s_mov_b32 s4, -1
                                        ; implicit-def: $vgpr2_vgpr3
.LBB6_774:
	s_and_b32 vcc_lo, exec_lo, s4
	s_cbranch_vccz .LBB6_802
; %bb.775:
	v_readfirstlane_b32 s4, v42
	v_mov_b32_e32 v8, 0
	v_mov_b32_e32 v9, 0
	v_cmp_eq_u32_e64 s4, s4, v42
	s_and_saveexec_b32 s5, s4
	s_cbranch_execz .LBB6_781
; %bb.776:
	s_waitcnt vmcnt(0)
	v_mov_b32_e32 v2, 0
	s_mov_b32 s6, exec_lo
	global_load_dwordx2 v[5:6], v2, s[38:39] offset:24 glc dlc
	s_waitcnt vmcnt(0)
	buffer_gl1_inv
	buffer_gl0_inv
	s_clause 0x1
	global_load_dwordx2 v[3:4], v2, s[38:39] offset:40
	global_load_dwordx2 v[7:8], v2, s[38:39]
	s_waitcnt vmcnt(1)
	v_and_b32_e32 v4, v4, v6
	v_and_b32_e32 v3, v3, v5
	v_mul_lo_u32 v4, v4, 24
	v_mul_hi_u32 v9, v3, 24
	v_mul_lo_u32 v3, v3, 24
	v_add_nc_u32_e32 v4, v9, v4
	s_waitcnt vmcnt(0)
	v_add_co_u32 v3, vcc_lo, v7, v3
	v_add_co_ci_u32_e32 v4, vcc_lo, v8, v4, vcc_lo
	global_load_dwordx2 v[3:4], v[3:4], off glc dlc
	s_waitcnt vmcnt(0)
	global_atomic_cmpswap_x2 v[8:9], v2, v[3:6], s[38:39] offset:24 glc
	s_waitcnt vmcnt(0)
	buffer_gl1_inv
	buffer_gl0_inv
	v_cmpx_ne_u64_e64 v[8:9], v[5:6]
	s_cbranch_execz .LBB6_780
; %bb.777:
	s_mov_b32 s7, 0
.LBB6_778:                              ; =>This Inner Loop Header: Depth=1
	s_sleep 1
	s_clause 0x1
	global_load_dwordx2 v[3:4], v2, s[38:39] offset:40
	global_load_dwordx2 v[10:11], v2, s[38:39]
	v_mov_b32_e32 v5, v8
	v_mov_b32_e32 v6, v9
	s_waitcnt vmcnt(1)
	v_and_b32_e32 v3, v3, v5
	v_and_b32_e32 v4, v4, v6
	s_waitcnt vmcnt(0)
	v_mad_u64_u32 v[7:8], null, v3, 24, v[10:11]
	v_mov_b32_e32 v3, v8
	v_mad_u64_u32 v[3:4], null, v4, 24, v[3:4]
	v_mov_b32_e32 v8, v3
	global_load_dwordx2 v[3:4], v[7:8], off glc dlc
	s_waitcnt vmcnt(0)
	global_atomic_cmpswap_x2 v[8:9], v2, v[3:6], s[38:39] offset:24 glc
	s_waitcnt vmcnt(0)
	buffer_gl1_inv
	buffer_gl0_inv
	v_cmp_eq_u64_e32 vcc_lo, v[8:9], v[5:6]
	s_or_b32 s7, vcc_lo, s7
	s_andn2_b32 exec_lo, exec_lo, s7
	s_cbranch_execnz .LBB6_778
; %bb.779:
	s_or_b32 exec_lo, exec_lo, s7
.LBB6_780:
	s_or_b32 exec_lo, exec_lo, s6
.LBB6_781:
	s_or_b32 exec_lo, exec_lo, s5
	s_waitcnt vmcnt(0)
	v_mov_b32_e32 v2, 0
	v_readfirstlane_b32 s6, v8
	v_readfirstlane_b32 s7, v9
	s_mov_b32 s5, exec_lo
	s_clause 0x1
	global_load_dwordx2 v[10:11], v2, s[38:39] offset:40
	global_load_dwordx4 v[4:7], v2, s[38:39]
	s_waitcnt vmcnt(1)
	v_readfirstlane_b32 s8, v10
	v_readfirstlane_b32 s9, v11
	s_and_b64 s[8:9], s[6:7], s[8:9]
	s_mul_i32 s10, s9, 24
	s_mul_hi_u32 s11, s8, 24
	s_mul_i32 s12, s8, 24
	s_add_i32 s11, s11, s10
	s_waitcnt vmcnt(0)
	v_add_co_u32 v8, vcc_lo, v4, s12
	v_add_co_ci_u32_e32 v9, vcc_lo, s11, v5, vcc_lo
	s_and_saveexec_b32 s10, s4
	s_cbranch_execz .LBB6_783
; %bb.782:
	v_mov_b32_e32 v10, s5
	v_mov_b32_e32 v11, v2
	;; [unrolled: 1-line block ×4, first 2 shown]
	global_store_dwordx4 v[8:9], v[10:13], off offset:8
.LBB6_783:
	s_or_b32 exec_lo, exec_lo, s10
	s_lshl_b64 s[8:9], s[8:9], 12
	v_and_or_b32 v0, 0xffffff1f, v0, 32
	v_add_co_u32 v6, vcc_lo, v6, s8
	v_add_co_ci_u32_e32 v7, vcc_lo, s9, v7, vcc_lo
	s_mov_b32 s8, 0
	v_readfirstlane_b32 s12, v6
	s_mov_b32 s11, s8
	v_add_co_u32 v6, vcc_lo, v6, v41
	s_mov_b32 s9, s8
	s_mov_b32 s10, s8
	v_mov_b32_e32 v3, v2
	v_readfirstlane_b32 s13, v7
	v_mov_b32_e32 v13, s11
	v_add_co_ci_u32_e32 v7, vcc_lo, 0, v7, vcc_lo
	v_mov_b32_e32 v12, s10
	v_mov_b32_e32 v11, s9
	;; [unrolled: 1-line block ×3, first 2 shown]
	global_store_dwordx4 v41, v[0:3], s[12:13]
	global_store_dwordx4 v41, v[10:13], s[12:13] offset:16
	global_store_dwordx4 v41, v[10:13], s[12:13] offset:32
	;; [unrolled: 1-line block ×3, first 2 shown]
	s_and_saveexec_b32 s5, s4
	s_cbranch_execz .LBB6_791
; %bb.784:
	v_mov_b32_e32 v10, 0
	v_mov_b32_e32 v11, s6
	;; [unrolled: 1-line block ×3, first 2 shown]
	s_clause 0x1
	global_load_dwordx2 v[13:14], v10, s[38:39] offset:32 glc dlc
	global_load_dwordx2 v[0:1], v10, s[38:39] offset:40
	s_waitcnt vmcnt(0)
	v_readfirstlane_b32 s8, v0
	v_readfirstlane_b32 s9, v1
	s_and_b64 s[8:9], s[8:9], s[6:7]
	s_mul_i32 s9, s9, 24
	s_mul_hi_u32 s10, s8, 24
	s_mul_i32 s8, s8, 24
	s_add_i32 s10, s10, s9
	v_add_co_u32 v4, vcc_lo, v4, s8
	v_add_co_ci_u32_e32 v5, vcc_lo, s10, v5, vcc_lo
	s_mov_b32 s8, exec_lo
	global_store_dwordx2 v[4:5], v[13:14], off
	s_waitcnt_vscnt null, 0x0
	global_atomic_cmpswap_x2 v[2:3], v10, v[11:14], s[38:39] offset:32 glc
	s_waitcnt vmcnt(0)
	v_cmpx_ne_u64_e64 v[2:3], v[13:14]
	s_cbranch_execz .LBB6_787
; %bb.785:
	s_mov_b32 s9, 0
.LBB6_786:                              ; =>This Inner Loop Header: Depth=1
	v_mov_b32_e32 v0, s6
	v_mov_b32_e32 v1, s7
	s_sleep 1
	global_store_dwordx2 v[4:5], v[2:3], off
	s_waitcnt_vscnt null, 0x0
	global_atomic_cmpswap_x2 v[0:1], v10, v[0:3], s[38:39] offset:32 glc
	s_waitcnt vmcnt(0)
	v_cmp_eq_u64_e32 vcc_lo, v[0:1], v[2:3]
	v_mov_b32_e32 v3, v1
	v_mov_b32_e32 v2, v0
	s_or_b32 s9, vcc_lo, s9
	s_andn2_b32 exec_lo, exec_lo, s9
	s_cbranch_execnz .LBB6_786
.LBB6_787:
	s_or_b32 exec_lo, exec_lo, s8
	v_mov_b32_e32 v3, 0
	s_mov_b32 s9, exec_lo
	s_mov_b32 s8, exec_lo
	v_mbcnt_lo_u32_b32 v2, s9, 0
	global_load_dwordx2 v[0:1], v3, s[38:39] offset:16
	v_cmpx_eq_u32_e32 0, v2
	s_cbranch_execz .LBB6_789
; %bb.788:
	s_bcnt1_i32_b32 s9, s9
	v_mov_b32_e32 v2, s9
	s_waitcnt vmcnt(0)
	global_atomic_add_x2 v[0:1], v[2:3], off offset:8
.LBB6_789:
	s_or_b32 exec_lo, exec_lo, s8
	s_waitcnt vmcnt(0)
	global_load_dwordx2 v[2:3], v[0:1], off offset:16
	s_waitcnt vmcnt(0)
	v_cmp_eq_u64_e32 vcc_lo, 0, v[2:3]
	s_cbranch_vccnz .LBB6_791
; %bb.790:
	global_load_dword v0, v[0:1], off offset:24
	v_mov_b32_e32 v1, 0
	s_waitcnt vmcnt(0)
	v_and_b32_e32 v4, 0x7fffff, v0
	s_waitcnt_vscnt null, 0x0
	global_store_dwordx2 v[2:3], v[0:1], off
	v_readfirstlane_b32 m0, v4
	s_sendmsg sendmsg(MSG_INTERRUPT)
.LBB6_791:
	s_or_b32 exec_lo, exec_lo, s5
	s_branch .LBB6_795
	.p2align	6
.LBB6_792:                              ;   in Loop: Header=BB6_795 Depth=1
	s_or_b32 exec_lo, exec_lo, s5
	v_readfirstlane_b32 s5, v0
	s_cmp_eq_u32 s5, 0
	s_cbranch_scc1 .LBB6_794
; %bb.793:                              ;   in Loop: Header=BB6_795 Depth=1
	s_sleep 1
	s_cbranch_execnz .LBB6_795
	s_branch .LBB6_797
.LBB6_794:
	s_branch .LBB6_797
.LBB6_795:                              ; =>This Inner Loop Header: Depth=1
	v_mov_b32_e32 v0, 1
	s_and_saveexec_b32 s5, s4
	s_cbranch_execz .LBB6_792
; %bb.796:                              ;   in Loop: Header=BB6_795 Depth=1
	global_load_dword v0, v[8:9], off offset:20 glc dlc
	s_waitcnt vmcnt(0)
	buffer_gl1_inv
	buffer_gl0_inv
	v_and_b32_e32 v0, 1, v0
	s_branch .LBB6_792
.LBB6_797:
	global_load_dwordx2 v[2:3], v[6:7], off
	s_and_saveexec_b32 s5, s4
	s_cbranch_execz .LBB6_801
; %bb.798:
	v_mov_b32_e32 v8, 0
	s_clause 0x2
	global_load_dwordx2 v[0:1], v8, s[38:39] offset:40
	global_load_dwordx2 v[9:10], v8, s[38:39] offset:24 glc dlc
	global_load_dwordx2 v[6:7], v8, s[38:39]
	s_waitcnt vmcnt(2)
	v_add_co_u32 v11, vcc_lo, v0, 1
	v_add_co_ci_u32_e32 v12, vcc_lo, 0, v1, vcc_lo
	v_add_co_u32 v4, vcc_lo, v11, s6
	v_add_co_ci_u32_e32 v5, vcc_lo, s7, v12, vcc_lo
	v_cmp_eq_u64_e32 vcc_lo, 0, v[4:5]
	v_cndmask_b32_e32 v5, v5, v12, vcc_lo
	v_cndmask_b32_e32 v4, v4, v11, vcc_lo
	v_and_b32_e32 v1, v5, v1
	v_and_b32_e32 v0, v4, v0
	v_mul_lo_u32 v1, v1, 24
	v_mul_hi_u32 v11, v0, 24
	v_mul_lo_u32 v0, v0, 24
	v_add_nc_u32_e32 v1, v11, v1
	s_waitcnt vmcnt(0)
	v_add_co_u32 v0, vcc_lo, v6, v0
	v_mov_b32_e32 v6, v9
	v_add_co_ci_u32_e32 v1, vcc_lo, v7, v1, vcc_lo
	v_mov_b32_e32 v7, v10
	global_store_dwordx2 v[0:1], v[9:10], off
	s_waitcnt_vscnt null, 0x0
	global_atomic_cmpswap_x2 v[6:7], v8, v[4:7], s[38:39] offset:24 glc
	s_waitcnt vmcnt(0)
	v_cmp_ne_u64_e32 vcc_lo, v[6:7], v[9:10]
	s_and_b32 exec_lo, exec_lo, vcc_lo
	s_cbranch_execz .LBB6_801
; %bb.799:
	s_mov_b32 s4, 0
.LBB6_800:                              ; =>This Inner Loop Header: Depth=1
	s_sleep 1
	global_store_dwordx2 v[0:1], v[6:7], off
	s_waitcnt_vscnt null, 0x0
	global_atomic_cmpswap_x2 v[9:10], v8, v[4:7], s[38:39] offset:24 glc
	s_waitcnt vmcnt(0)
	v_cmp_eq_u64_e32 vcc_lo, v[9:10], v[6:7]
	v_mov_b32_e32 v6, v9
	v_mov_b32_e32 v7, v10
	s_or_b32 s4, vcc_lo, s4
	s_andn2_b32 exec_lo, exec_lo, s4
	s_cbranch_execnz .LBB6_800
.LBB6_801:
	s_or_b32 exec_lo, exec_lo, s5
.LBB6_802:
	v_readfirstlane_b32 s4, v42
	s_waitcnt vmcnt(0)
	v_mov_b32_e32 v0, 0
	v_mov_b32_e32 v1, 0
	v_cmp_eq_u32_e64 s4, s4, v42
	s_and_saveexec_b32 s5, s4
	s_cbranch_execz .LBB6_808
; %bb.803:
	v_mov_b32_e32 v4, 0
	s_mov_b32 s6, exec_lo
	global_load_dwordx2 v[7:8], v4, s[38:39] offset:24 glc dlc
	s_waitcnt vmcnt(0)
	buffer_gl1_inv
	buffer_gl0_inv
	s_clause 0x1
	global_load_dwordx2 v[0:1], v4, s[38:39] offset:40
	global_load_dwordx2 v[5:6], v4, s[38:39]
	s_waitcnt vmcnt(1)
	v_and_b32_e32 v1, v1, v8
	v_and_b32_e32 v0, v0, v7
	v_mul_lo_u32 v1, v1, 24
	v_mul_hi_u32 v9, v0, 24
	v_mul_lo_u32 v0, v0, 24
	v_add_nc_u32_e32 v1, v9, v1
	s_waitcnt vmcnt(0)
	v_add_co_u32 v0, vcc_lo, v5, v0
	v_add_co_ci_u32_e32 v1, vcc_lo, v6, v1, vcc_lo
	global_load_dwordx2 v[5:6], v[0:1], off glc dlc
	s_waitcnt vmcnt(0)
	global_atomic_cmpswap_x2 v[0:1], v4, v[5:8], s[38:39] offset:24 glc
	s_waitcnt vmcnt(0)
	buffer_gl1_inv
	buffer_gl0_inv
	v_cmpx_ne_u64_e64 v[0:1], v[7:8]
	s_cbranch_execz .LBB6_807
; %bb.804:
	s_mov_b32 s7, 0
.LBB6_805:                              ; =>This Inner Loop Header: Depth=1
	s_sleep 1
	s_clause 0x1
	global_load_dwordx2 v[5:6], v4, s[38:39] offset:40
	global_load_dwordx2 v[9:10], v4, s[38:39]
	v_mov_b32_e32 v8, v1
	v_mov_b32_e32 v7, v0
	s_waitcnt vmcnt(1)
	v_and_b32_e32 v0, v5, v7
	v_and_b32_e32 v5, v6, v8
	s_waitcnt vmcnt(0)
	v_mad_u64_u32 v[0:1], null, v0, 24, v[9:10]
	v_mad_u64_u32 v[5:6], null, v5, 24, v[1:2]
	v_mov_b32_e32 v1, v5
	global_load_dwordx2 v[5:6], v[0:1], off glc dlc
	s_waitcnt vmcnt(0)
	global_atomic_cmpswap_x2 v[0:1], v4, v[5:8], s[38:39] offset:24 glc
	s_waitcnt vmcnt(0)
	buffer_gl1_inv
	buffer_gl0_inv
	v_cmp_eq_u64_e32 vcc_lo, v[0:1], v[7:8]
	s_or_b32 s7, vcc_lo, s7
	s_andn2_b32 exec_lo, exec_lo, s7
	s_cbranch_execnz .LBB6_805
; %bb.806:
	s_or_b32 exec_lo, exec_lo, s7
.LBB6_807:
	s_or_b32 exec_lo, exec_lo, s6
.LBB6_808:
	s_or_b32 exec_lo, exec_lo, s5
	v_mov_b32_e32 v5, 0
	v_readfirstlane_b32 s6, v0
	v_readfirstlane_b32 s7, v1
	s_mov_b32 s5, exec_lo
	s_clause 0x1
	global_load_dwordx2 v[10:11], v5, s[38:39] offset:40
	global_load_dwordx4 v[6:9], v5, s[38:39]
	s_waitcnt vmcnt(1)
	v_readfirstlane_b32 s8, v10
	v_readfirstlane_b32 s9, v11
	s_and_b64 s[8:9], s[6:7], s[8:9]
	s_mul_i32 s10, s9, 24
	s_mul_hi_u32 s11, s8, 24
	s_mul_i32 s12, s8, 24
	s_add_i32 s11, s11, s10
	s_waitcnt vmcnt(0)
	v_add_co_u32 v10, vcc_lo, v6, s12
	v_add_co_ci_u32_e32 v11, vcc_lo, s11, v7, vcc_lo
	s_and_saveexec_b32 s10, s4
	s_cbranch_execz .LBB6_810
; %bb.809:
	v_mov_b32_e32 v4, s5
	v_mov_b32_e32 v13, v5
	;; [unrolled: 1-line block ×5, first 2 shown]
	global_store_dwordx4 v[10:11], v[12:15], off offset:8
.LBB6_810:
	s_or_b32 exec_lo, exec_lo, s10
	s_lshl_b64 s[8:9], s[8:9], 12
	v_and_or_b32 v2, 0xffffff1d, v2, 34
	v_add_co_u32 v0, vcc_lo, v8, s8
	v_add_co_ci_u32_e32 v1, vcc_lo, s9, v9, vcc_lo
	s_mov_b32 s8, 0
	v_mov_b32_e32 v4, 58
	s_mov_b32 s11, s8
	s_mov_b32 s9, s8
	;; [unrolled: 1-line block ×3, first 2 shown]
	v_readfirstlane_b32 s12, v0
	v_readfirstlane_b32 s13, v1
	v_mov_b32_e32 v15, s11
	v_mov_b32_e32 v14, s10
	;; [unrolled: 1-line block ×4, first 2 shown]
	global_store_dwordx4 v41, v[2:5], s[12:13]
	global_store_dwordx4 v41, v[12:15], s[12:13] offset:16
	global_store_dwordx4 v41, v[12:15], s[12:13] offset:32
	;; [unrolled: 1-line block ×3, first 2 shown]
	s_and_saveexec_b32 s5, s4
	s_cbranch_execz .LBB6_818
; %bb.811:
	v_mov_b32_e32 v8, 0
	v_mov_b32_e32 v12, s6
	;; [unrolled: 1-line block ×3, first 2 shown]
	s_clause 0x1
	global_load_dwordx2 v[14:15], v8, s[38:39] offset:32 glc dlc
	global_load_dwordx2 v[0:1], v8, s[38:39] offset:40
	s_waitcnt vmcnt(0)
	v_readfirstlane_b32 s8, v0
	v_readfirstlane_b32 s9, v1
	s_and_b64 s[8:9], s[8:9], s[6:7]
	s_mul_i32 s9, s9, 24
	s_mul_hi_u32 s10, s8, 24
	s_mul_i32 s8, s8, 24
	s_add_i32 s10, s10, s9
	v_add_co_u32 v4, vcc_lo, v6, s8
	v_add_co_ci_u32_e32 v5, vcc_lo, s10, v7, vcc_lo
	s_mov_b32 s8, exec_lo
	global_store_dwordx2 v[4:5], v[14:15], off
	s_waitcnt_vscnt null, 0x0
	global_atomic_cmpswap_x2 v[2:3], v8, v[12:15], s[38:39] offset:32 glc
	s_waitcnt vmcnt(0)
	v_cmpx_ne_u64_e64 v[2:3], v[14:15]
	s_cbranch_execz .LBB6_814
; %bb.812:
	s_mov_b32 s9, 0
.LBB6_813:                              ; =>This Inner Loop Header: Depth=1
	v_mov_b32_e32 v0, s6
	v_mov_b32_e32 v1, s7
	s_sleep 1
	global_store_dwordx2 v[4:5], v[2:3], off
	s_waitcnt_vscnt null, 0x0
	global_atomic_cmpswap_x2 v[0:1], v8, v[0:3], s[38:39] offset:32 glc
	s_waitcnt vmcnt(0)
	v_cmp_eq_u64_e32 vcc_lo, v[0:1], v[2:3]
	v_mov_b32_e32 v3, v1
	v_mov_b32_e32 v2, v0
	s_or_b32 s9, vcc_lo, s9
	s_andn2_b32 exec_lo, exec_lo, s9
	s_cbranch_execnz .LBB6_813
.LBB6_814:
	s_or_b32 exec_lo, exec_lo, s8
	v_mov_b32_e32 v3, 0
	s_mov_b32 s9, exec_lo
	s_mov_b32 s8, exec_lo
	v_mbcnt_lo_u32_b32 v2, s9, 0
	global_load_dwordx2 v[0:1], v3, s[38:39] offset:16
	v_cmpx_eq_u32_e32 0, v2
	s_cbranch_execz .LBB6_816
; %bb.815:
	s_bcnt1_i32_b32 s9, s9
	v_mov_b32_e32 v2, s9
	s_waitcnt vmcnt(0)
	global_atomic_add_x2 v[0:1], v[2:3], off offset:8
.LBB6_816:
	s_or_b32 exec_lo, exec_lo, s8
	s_waitcnt vmcnt(0)
	global_load_dwordx2 v[2:3], v[0:1], off offset:16
	s_waitcnt vmcnt(0)
	v_cmp_eq_u64_e32 vcc_lo, 0, v[2:3]
	s_cbranch_vccnz .LBB6_818
; %bb.817:
	global_load_dword v0, v[0:1], off offset:24
	v_mov_b32_e32 v1, 0
	s_waitcnt vmcnt(0)
	v_and_b32_e32 v4, 0x7fffff, v0
	s_waitcnt_vscnt null, 0x0
	global_store_dwordx2 v[2:3], v[0:1], off
	v_readfirstlane_b32 m0, v4
	s_sendmsg sendmsg(MSG_INTERRUPT)
.LBB6_818:
	s_or_b32 exec_lo, exec_lo, s5
	s_branch .LBB6_822
	.p2align	6
.LBB6_819:                              ;   in Loop: Header=BB6_822 Depth=1
	s_or_b32 exec_lo, exec_lo, s5
	v_readfirstlane_b32 s5, v0
	s_cmp_eq_u32 s5, 0
	s_cbranch_scc1 .LBB6_821
; %bb.820:                              ;   in Loop: Header=BB6_822 Depth=1
	s_sleep 1
	s_cbranch_execnz .LBB6_822
	s_branch .LBB6_824
	.p2align	6
.LBB6_821:
	s_branch .LBB6_824
.LBB6_822:                              ; =>This Inner Loop Header: Depth=1
	v_mov_b32_e32 v0, 1
	s_and_saveexec_b32 s5, s4
	s_cbranch_execz .LBB6_819
; %bb.823:                              ;   in Loop: Header=BB6_822 Depth=1
	global_load_dword v0, v[10:11], off offset:20 glc dlc
	s_waitcnt vmcnt(0)
	buffer_gl1_inv
	buffer_gl0_inv
	v_and_b32_e32 v0, 1, v0
	s_branch .LBB6_819
.LBB6_824:
	s_and_saveexec_b32 s5, s4
	s_cbranch_execz .LBB6_828
; %bb.825:
	v_mov_b32_e32 v6, 0
	s_clause 0x2
	global_load_dwordx2 v[2:3], v6, s[38:39] offset:40
	global_load_dwordx2 v[7:8], v6, s[38:39] offset:24 glc dlc
	global_load_dwordx2 v[4:5], v6, s[38:39]
	s_waitcnt vmcnt(2)
	v_add_co_u32 v9, vcc_lo, v2, 1
	v_add_co_ci_u32_e32 v10, vcc_lo, 0, v3, vcc_lo
	v_add_co_u32 v0, vcc_lo, v9, s6
	v_add_co_ci_u32_e32 v1, vcc_lo, s7, v10, vcc_lo
	v_cmp_eq_u64_e32 vcc_lo, 0, v[0:1]
	v_cndmask_b32_e32 v1, v1, v10, vcc_lo
	v_cndmask_b32_e32 v0, v0, v9, vcc_lo
	v_and_b32_e32 v3, v1, v3
	v_and_b32_e32 v2, v0, v2
	v_mul_lo_u32 v3, v3, 24
	v_mul_hi_u32 v9, v2, 24
	v_mul_lo_u32 v2, v2, 24
	v_add_nc_u32_e32 v3, v9, v3
	s_waitcnt vmcnt(0)
	v_add_co_u32 v4, vcc_lo, v4, v2
	v_mov_b32_e32 v2, v7
	v_add_co_ci_u32_e32 v5, vcc_lo, v5, v3, vcc_lo
	v_mov_b32_e32 v3, v8
	global_store_dwordx2 v[4:5], v[7:8], off
	s_waitcnt_vscnt null, 0x0
	global_atomic_cmpswap_x2 v[2:3], v6, v[0:3], s[38:39] offset:24 glc
	s_waitcnt vmcnt(0)
	v_cmp_ne_u64_e32 vcc_lo, v[2:3], v[7:8]
	s_and_b32 exec_lo, exec_lo, vcc_lo
	s_cbranch_execz .LBB6_828
; %bb.826:
	s_mov_b32 s4, 0
.LBB6_827:                              ; =>This Inner Loop Header: Depth=1
	s_sleep 1
	global_store_dwordx2 v[4:5], v[2:3], off
	s_waitcnt_vscnt null, 0x0
	global_atomic_cmpswap_x2 v[7:8], v6, v[0:3], s[38:39] offset:24 glc
	s_waitcnt vmcnt(0)
	v_cmp_eq_u64_e32 vcc_lo, v[7:8], v[2:3]
	v_mov_b32_e32 v2, v7
	v_mov_b32_e32 v3, v8
	s_or_b32 s4, vcc_lo, s4
	s_andn2_b32 exec_lo, exec_lo, s4
	s_cbranch_execnz .LBB6_827
.LBB6_828:
	s_or_b32 exec_lo, exec_lo, s5
	v_readfirstlane_b32 s4, v42
	v_mov_b32_e32 v6, 0
	v_mov_b32_e32 v7, 0
	v_cmp_eq_u32_e64 s4, s4, v42
	s_and_saveexec_b32 s5, s4
	s_cbranch_execz .LBB6_834
; %bb.829:
	v_mov_b32_e32 v0, 0
	s_mov_b32 s6, exec_lo
	global_load_dwordx2 v[3:4], v0, s[38:39] offset:24 glc dlc
	s_waitcnt vmcnt(0)
	buffer_gl1_inv
	buffer_gl0_inv
	s_clause 0x1
	global_load_dwordx2 v[1:2], v0, s[38:39] offset:40
	global_load_dwordx2 v[5:6], v0, s[38:39]
	s_waitcnt vmcnt(1)
	v_and_b32_e32 v2, v2, v4
	v_and_b32_e32 v1, v1, v3
	v_mul_lo_u32 v2, v2, 24
	v_mul_hi_u32 v7, v1, 24
	v_mul_lo_u32 v1, v1, 24
	v_add_nc_u32_e32 v2, v7, v2
	s_waitcnt vmcnt(0)
	v_add_co_u32 v1, vcc_lo, v5, v1
	v_add_co_ci_u32_e32 v2, vcc_lo, v6, v2, vcc_lo
	global_load_dwordx2 v[1:2], v[1:2], off glc dlc
	s_waitcnt vmcnt(0)
	global_atomic_cmpswap_x2 v[6:7], v0, v[1:4], s[38:39] offset:24 glc
	s_waitcnt vmcnt(0)
	buffer_gl1_inv
	buffer_gl0_inv
	v_cmpx_ne_u64_e64 v[6:7], v[3:4]
	s_cbranch_execz .LBB6_833
; %bb.830:
	s_mov_b32 s7, 0
.LBB6_831:                              ; =>This Inner Loop Header: Depth=1
	s_sleep 1
	s_clause 0x1
	global_load_dwordx2 v[1:2], v0, s[38:39] offset:40
	global_load_dwordx2 v[8:9], v0, s[38:39]
	v_mov_b32_e32 v3, v6
	v_mov_b32_e32 v4, v7
	s_waitcnt vmcnt(1)
	v_and_b32_e32 v1, v1, v3
	v_and_b32_e32 v2, v2, v4
	s_waitcnt vmcnt(0)
	v_mad_u64_u32 v[5:6], null, v1, 24, v[8:9]
	v_mov_b32_e32 v1, v6
	v_mad_u64_u32 v[1:2], null, v2, 24, v[1:2]
	v_mov_b32_e32 v6, v1
	global_load_dwordx2 v[1:2], v[5:6], off glc dlc
	s_waitcnt vmcnt(0)
	global_atomic_cmpswap_x2 v[6:7], v0, v[1:4], s[38:39] offset:24 glc
	s_waitcnt vmcnt(0)
	buffer_gl1_inv
	buffer_gl0_inv
	v_cmp_eq_u64_e32 vcc_lo, v[6:7], v[3:4]
	s_or_b32 s7, vcc_lo, s7
	s_andn2_b32 exec_lo, exec_lo, s7
	s_cbranch_execnz .LBB6_831
; %bb.832:
	s_or_b32 exec_lo, exec_lo, s7
.LBB6_833:
	s_or_b32 exec_lo, exec_lo, s6
.LBB6_834:
	s_or_b32 exec_lo, exec_lo, s5
	v_mov_b32_e32 v5, 0
	v_readfirstlane_b32 s6, v6
	v_readfirstlane_b32 s7, v7
	s_mov_b32 s5, exec_lo
	s_clause 0x1
	global_load_dwordx2 v[8:9], v5, s[38:39] offset:40
	global_load_dwordx4 v[0:3], v5, s[38:39]
	s_waitcnt vmcnt(1)
	v_readfirstlane_b32 s8, v8
	v_readfirstlane_b32 s9, v9
	s_and_b64 s[8:9], s[6:7], s[8:9]
	s_mul_i32 s10, s9, 24
	s_mul_hi_u32 s11, s8, 24
	s_mul_i32 s12, s8, 24
	s_add_i32 s11, s11, s10
	s_waitcnt vmcnt(0)
	v_add_co_u32 v8, vcc_lo, v0, s12
	v_add_co_ci_u32_e32 v9, vcc_lo, s11, v1, vcc_lo
	s_and_saveexec_b32 s10, s4
	s_cbranch_execz .LBB6_836
; %bb.835:
	v_mov_b32_e32 v4, s5
	v_mov_b32_e32 v6, 2
	;; [unrolled: 1-line block ×3, first 2 shown]
	global_store_dwordx4 v[8:9], v[4:7], off offset:8
.LBB6_836:
	s_or_b32 exec_lo, exec_lo, s10
	s_lshl_b64 s[8:9], s[8:9], 12
	v_mov_b32_e32 v4, 33
	v_add_co_u32 v2, vcc_lo, v2, s8
	v_add_co_ci_u32_e32 v3, vcc_lo, s9, v3, vcc_lo
	s_mov_b32 s8, 0
	v_add_co_u32 v10, vcc_lo, v2, v41
	s_mov_b32 s11, s8
	s_mov_b32 s9, s8
	s_mov_b32 s10, s8
	v_mov_b32_e32 v6, v5
	v_mov_b32_e32 v7, v5
	v_readfirstlane_b32 s12, v2
	v_readfirstlane_b32 s13, v3
	v_mov_b32_e32 v15, s11
	v_add_co_ci_u32_e32 v11, vcc_lo, 0, v3, vcc_lo
	v_mov_b32_e32 v14, s10
	v_mov_b32_e32 v13, s9
	;; [unrolled: 1-line block ×3, first 2 shown]
	global_store_dwordx4 v41, v[4:7], s[12:13]
	global_store_dwordx4 v41, v[12:15], s[12:13] offset:16
	global_store_dwordx4 v41, v[12:15], s[12:13] offset:32
	;; [unrolled: 1-line block ×3, first 2 shown]
	s_and_saveexec_b32 s5, s4
	s_cbranch_execz .LBB6_844
; %bb.837:
	v_mov_b32_e32 v6, 0
	v_mov_b32_e32 v12, s6
	;; [unrolled: 1-line block ×3, first 2 shown]
	s_clause 0x1
	global_load_dwordx2 v[14:15], v6, s[38:39] offset:32 glc dlc
	global_load_dwordx2 v[2:3], v6, s[38:39] offset:40
	s_waitcnt vmcnt(0)
	v_readfirstlane_b32 s8, v2
	v_readfirstlane_b32 s9, v3
	s_and_b64 s[8:9], s[8:9], s[6:7]
	s_mul_i32 s9, s9, 24
	s_mul_hi_u32 s10, s8, 24
	s_mul_i32 s8, s8, 24
	s_add_i32 s10, s10, s9
	v_add_co_u32 v4, vcc_lo, v0, s8
	v_add_co_ci_u32_e32 v5, vcc_lo, s10, v1, vcc_lo
	s_mov_b32 s8, exec_lo
	global_store_dwordx2 v[4:5], v[14:15], off
	s_waitcnt_vscnt null, 0x0
	global_atomic_cmpswap_x2 v[2:3], v6, v[12:15], s[38:39] offset:32 glc
	s_waitcnt vmcnt(0)
	v_cmpx_ne_u64_e64 v[2:3], v[14:15]
	s_cbranch_execz .LBB6_840
; %bb.838:
	s_mov_b32 s9, 0
.LBB6_839:                              ; =>This Inner Loop Header: Depth=1
	v_mov_b32_e32 v0, s6
	v_mov_b32_e32 v1, s7
	s_sleep 1
	global_store_dwordx2 v[4:5], v[2:3], off
	s_waitcnt_vscnt null, 0x0
	global_atomic_cmpswap_x2 v[0:1], v6, v[0:3], s[38:39] offset:32 glc
	s_waitcnt vmcnt(0)
	v_cmp_eq_u64_e32 vcc_lo, v[0:1], v[2:3]
	v_mov_b32_e32 v3, v1
	v_mov_b32_e32 v2, v0
	s_or_b32 s9, vcc_lo, s9
	s_andn2_b32 exec_lo, exec_lo, s9
	s_cbranch_execnz .LBB6_839
.LBB6_840:
	s_or_b32 exec_lo, exec_lo, s8
	v_mov_b32_e32 v3, 0
	s_mov_b32 s9, exec_lo
	s_mov_b32 s8, exec_lo
	v_mbcnt_lo_u32_b32 v2, s9, 0
	global_load_dwordx2 v[0:1], v3, s[38:39] offset:16
	v_cmpx_eq_u32_e32 0, v2
	s_cbranch_execz .LBB6_842
; %bb.841:
	s_bcnt1_i32_b32 s9, s9
	v_mov_b32_e32 v2, s9
	s_waitcnt vmcnt(0)
	global_atomic_add_x2 v[0:1], v[2:3], off offset:8
.LBB6_842:
	s_or_b32 exec_lo, exec_lo, s8
	s_waitcnt vmcnt(0)
	global_load_dwordx2 v[2:3], v[0:1], off offset:16
	s_waitcnt vmcnt(0)
	v_cmp_eq_u64_e32 vcc_lo, 0, v[2:3]
	s_cbranch_vccnz .LBB6_844
; %bb.843:
	global_load_dword v0, v[0:1], off offset:24
	v_mov_b32_e32 v1, 0
	s_waitcnt vmcnt(0)
	v_and_b32_e32 v4, 0x7fffff, v0
	s_waitcnt_vscnt null, 0x0
	global_store_dwordx2 v[2:3], v[0:1], off
	v_readfirstlane_b32 m0, v4
	s_sendmsg sendmsg(MSG_INTERRUPT)
.LBB6_844:
	s_or_b32 exec_lo, exec_lo, s5
	s_branch .LBB6_848
	.p2align	6
.LBB6_845:                              ;   in Loop: Header=BB6_848 Depth=1
	s_or_b32 exec_lo, exec_lo, s5
	v_readfirstlane_b32 s5, v0
	s_cmp_eq_u32 s5, 0
	s_cbranch_scc1 .LBB6_847
; %bb.846:                              ;   in Loop: Header=BB6_848 Depth=1
	s_sleep 1
	s_cbranch_execnz .LBB6_848
	s_branch .LBB6_850
	.p2align	6
.LBB6_847:
	s_branch .LBB6_850
.LBB6_848:                              ; =>This Inner Loop Header: Depth=1
	v_mov_b32_e32 v0, 1
	s_and_saveexec_b32 s5, s4
	s_cbranch_execz .LBB6_845
; %bb.849:                              ;   in Loop: Header=BB6_848 Depth=1
	global_load_dword v0, v[8:9], off offset:20 glc dlc
	s_waitcnt vmcnt(0)
	buffer_gl1_inv
	buffer_gl0_inv
	v_and_b32_e32 v0, 1, v0
	s_branch .LBB6_845
.LBB6_850:
	global_load_dwordx2 v[0:1], v[10:11], off
	s_and_saveexec_b32 s5, s4
	s_cbranch_execz .LBB6_854
; %bb.851:
	v_mov_b32_e32 v8, 0
	s_clause 0x2
	global_load_dwordx2 v[4:5], v8, s[38:39] offset:40
	global_load_dwordx2 v[9:10], v8, s[38:39] offset:24 glc dlc
	global_load_dwordx2 v[6:7], v8, s[38:39]
	s_waitcnt vmcnt(2)
	v_add_co_u32 v11, vcc_lo, v4, 1
	v_add_co_ci_u32_e32 v12, vcc_lo, 0, v5, vcc_lo
	v_add_co_u32 v2, vcc_lo, v11, s6
	v_add_co_ci_u32_e32 v3, vcc_lo, s7, v12, vcc_lo
	v_cmp_eq_u64_e32 vcc_lo, 0, v[2:3]
	v_cndmask_b32_e32 v3, v3, v12, vcc_lo
	v_cndmask_b32_e32 v2, v2, v11, vcc_lo
	v_and_b32_e32 v5, v3, v5
	v_and_b32_e32 v4, v2, v4
	v_mul_lo_u32 v5, v5, 24
	v_mul_hi_u32 v11, v4, 24
	v_mul_lo_u32 v4, v4, 24
	v_add_nc_u32_e32 v5, v11, v5
	s_waitcnt vmcnt(0)
	v_add_co_u32 v6, vcc_lo, v6, v4
	v_mov_b32_e32 v4, v9
	v_add_co_ci_u32_e32 v7, vcc_lo, v7, v5, vcc_lo
	v_mov_b32_e32 v5, v10
	global_store_dwordx2 v[6:7], v[9:10], off
	s_waitcnt_vscnt null, 0x0
	global_atomic_cmpswap_x2 v[4:5], v8, v[2:5], s[38:39] offset:24 glc
	s_waitcnt vmcnt(0)
	v_cmp_ne_u64_e32 vcc_lo, v[4:5], v[9:10]
	s_and_b32 exec_lo, exec_lo, vcc_lo
	s_cbranch_execz .LBB6_854
; %bb.852:
	s_mov_b32 s4, 0
.LBB6_853:                              ; =>This Inner Loop Header: Depth=1
	s_sleep 1
	global_store_dwordx2 v[6:7], v[4:5], off
	s_waitcnt_vscnt null, 0x0
	global_atomic_cmpswap_x2 v[9:10], v8, v[2:5], s[38:39] offset:24 glc
	s_waitcnt vmcnt(0)
	v_cmp_eq_u64_e32 vcc_lo, v[9:10], v[4:5]
	v_mov_b32_e32 v4, v9
	v_mov_b32_e32 v5, v10
	s_or_b32 s4, vcc_lo, s4
	s_andn2_b32 exec_lo, exec_lo, s4
	s_cbranch_execnz .LBB6_853
.LBB6_854:
	s_or_b32 exec_lo, exec_lo, s5
	s_getpc_b64 s[6:7]
	s_add_u32 s6, s6, .str.10@rel32@lo+4
	s_addc_u32 s7, s7, .str.10@rel32@hi+12
	s_cmp_lg_u64 s[6:7], 0
	s_cbranch_scc0 .LBB6_933
; %bb.855:
	s_waitcnt vmcnt(0)
	v_and_b32_e32 v31, 2, v0
	v_mov_b32_e32 v6, 0
	v_and_b32_e32 v2, -3, v0
	v_mov_b32_e32 v3, v1
	v_mov_b32_e32 v7, 2
	v_mov_b32_e32 v8, 1
	s_mov_b64 s[8:9], 4
	s_branch .LBB6_857
.LBB6_856:                              ;   in Loop: Header=BB6_857 Depth=1
	s_or_b32 exec_lo, exec_lo, s5
	s_sub_u32 s8, s8, s10
	s_subb_u32 s9, s9, s11
	s_add_u32 s6, s6, s10
	s_addc_u32 s7, s7, s11
	s_cmp_lg_u64 s[8:9], 0
	s_cbranch_scc0 .LBB6_932
.LBB6_857:                              ; =>This Loop Header: Depth=1
                                        ;     Child Loop BB6_866 Depth 2
                                        ;     Child Loop BB6_862 Depth 2
	;; [unrolled: 1-line block ×11, first 2 shown]
	v_cmp_lt_u64_e64 s4, s[8:9], 56
	v_cmp_gt_u64_e64 s5, s[8:9], 7
                                        ; implicit-def: $vgpr11_vgpr12
                                        ; implicit-def: $sgpr17
	s_and_b32 s4, s4, exec_lo
	s_cselect_b32 s11, s9, 0
	s_cselect_b32 s10, s8, 56
	s_and_b32 vcc_lo, exec_lo, s5
	s_mov_b32 s4, -1
	s_cbranch_vccz .LBB6_864
; %bb.858:                              ;   in Loop: Header=BB6_857 Depth=1
	s_andn2_b32 vcc_lo, exec_lo, s4
	s_mov_b64 s[4:5], s[6:7]
	s_cbranch_vccz .LBB6_868
.LBB6_859:                              ;   in Loop: Header=BB6_857 Depth=1
	s_cmp_gt_u32 s17, 7
	s_cbranch_scc1 .LBB6_869
.LBB6_860:                              ;   in Loop: Header=BB6_857 Depth=1
	v_mov_b32_e32 v13, 0
	v_mov_b32_e32 v14, 0
	s_cmp_eq_u32 s17, 0
	s_cbranch_scc1 .LBB6_863
; %bb.861:                              ;   in Loop: Header=BB6_857 Depth=1
	s_mov_b64 s[12:13], 0
	s_mov_b64 s[14:15], 0
.LBB6_862:                              ;   Parent Loop BB6_857 Depth=1
                                        ; =>  This Inner Loop Header: Depth=2
	s_add_u32 s18, s4, s14
	s_addc_u32 s19, s5, s15
	s_add_u32 s14, s14, 1
	global_load_ubyte v4, v6, s[18:19]
	s_addc_u32 s15, s15, 0
	s_waitcnt vmcnt(0)
	v_and_b32_e32 v5, 0xffff, v4
	v_lshlrev_b64 v[4:5], s12, v[5:6]
	s_add_u32 s12, s12, 8
	s_addc_u32 s13, s13, 0
	s_cmp_lg_u32 s17, s14
	v_or_b32_e32 v13, v4, v13
	v_or_b32_e32 v14, v5, v14
	s_cbranch_scc1 .LBB6_862
.LBB6_863:                              ;   in Loop: Header=BB6_857 Depth=1
	s_mov_b32 s18, 0
	s_cbranch_execz .LBB6_870
	s_branch .LBB6_871
.LBB6_864:                              ;   in Loop: Header=BB6_857 Depth=1
	v_mov_b32_e32 v11, 0
	v_mov_b32_e32 v12, 0
	s_cmp_eq_u64 s[8:9], 0
	s_mov_b64 s[4:5], 0
	s_cbranch_scc1 .LBB6_867
; %bb.865:                              ;   in Loop: Header=BB6_857 Depth=1
	v_mov_b32_e32 v11, 0
	v_mov_b32_e32 v12, 0
	s_lshl_b64 s[12:13], s[10:11], 3
	s_mov_b64 s[14:15], s[6:7]
.LBB6_866:                              ;   Parent Loop BB6_857 Depth=1
                                        ; =>  This Inner Loop Header: Depth=2
	global_load_ubyte v4, v6, s[14:15]
	s_waitcnt vmcnt(0)
	v_and_b32_e32 v5, 0xffff, v4
	v_lshlrev_b64 v[4:5], s4, v[5:6]
	s_add_u32 s4, s4, 8
	s_addc_u32 s5, s5, 0
	s_add_u32 s14, s14, 1
	s_addc_u32 s15, s15, 0
	s_cmp_lg_u32 s12, s4
	v_or_b32_e32 v11, v4, v11
	v_or_b32_e32 v12, v5, v12
	s_cbranch_scc1 .LBB6_866
.LBB6_867:                              ;   in Loop: Header=BB6_857 Depth=1
	s_mov_b32 s17, 0
	s_mov_b64 s[4:5], s[6:7]
	s_cbranch_execnz .LBB6_859
.LBB6_868:                              ;   in Loop: Header=BB6_857 Depth=1
	global_load_dwordx2 v[11:12], v6, s[6:7]
	s_add_i32 s17, s10, -8
	s_add_u32 s4, s6, 8
	s_addc_u32 s5, s7, 0
	s_cmp_gt_u32 s17, 7
	s_cbranch_scc0 .LBB6_860
.LBB6_869:                              ;   in Loop: Header=BB6_857 Depth=1
                                        ; implicit-def: $vgpr13_vgpr14
                                        ; implicit-def: $sgpr18
.LBB6_870:                              ;   in Loop: Header=BB6_857 Depth=1
	global_load_dwordx2 v[13:14], v6, s[4:5]
	s_add_i32 s18, s17, -8
	s_add_u32 s4, s4, 8
	s_addc_u32 s5, s5, 0
.LBB6_871:                              ;   in Loop: Header=BB6_857 Depth=1
	s_cmp_gt_u32 s18, 7
	s_cbranch_scc1 .LBB6_876
; %bb.872:                              ;   in Loop: Header=BB6_857 Depth=1
	v_mov_b32_e32 v15, 0
	v_mov_b32_e32 v16, 0
	s_cmp_eq_u32 s18, 0
	s_cbranch_scc1 .LBB6_875
; %bb.873:                              ;   in Loop: Header=BB6_857 Depth=1
	s_mov_b64 s[12:13], 0
	s_mov_b64 s[14:15], 0
.LBB6_874:                              ;   Parent Loop BB6_857 Depth=1
                                        ; =>  This Inner Loop Header: Depth=2
	s_add_u32 s20, s4, s14
	s_addc_u32 s21, s5, s15
	s_add_u32 s14, s14, 1
	global_load_ubyte v4, v6, s[20:21]
	s_addc_u32 s15, s15, 0
	s_waitcnt vmcnt(0)
	v_and_b32_e32 v5, 0xffff, v4
	v_lshlrev_b64 v[4:5], s12, v[5:6]
	s_add_u32 s12, s12, 8
	s_addc_u32 s13, s13, 0
	s_cmp_lg_u32 s18, s14
	v_or_b32_e32 v15, v4, v15
	v_or_b32_e32 v16, v5, v16
	s_cbranch_scc1 .LBB6_874
.LBB6_875:                              ;   in Loop: Header=BB6_857 Depth=1
	s_mov_b32 s17, 0
	s_cbranch_execz .LBB6_877
	s_branch .LBB6_878
.LBB6_876:                              ;   in Loop: Header=BB6_857 Depth=1
                                        ; implicit-def: $sgpr17
.LBB6_877:                              ;   in Loop: Header=BB6_857 Depth=1
	global_load_dwordx2 v[15:16], v6, s[4:5]
	s_add_i32 s17, s18, -8
	s_add_u32 s4, s4, 8
	s_addc_u32 s5, s5, 0
.LBB6_878:                              ;   in Loop: Header=BB6_857 Depth=1
	s_cmp_gt_u32 s17, 7
	s_cbranch_scc1 .LBB6_883
; %bb.879:                              ;   in Loop: Header=BB6_857 Depth=1
	v_mov_b32_e32 v17, 0
	v_mov_b32_e32 v18, 0
	s_cmp_eq_u32 s17, 0
	s_cbranch_scc1 .LBB6_882
; %bb.880:                              ;   in Loop: Header=BB6_857 Depth=1
	s_mov_b64 s[12:13], 0
	s_mov_b64 s[14:15], 0
.LBB6_881:                              ;   Parent Loop BB6_857 Depth=1
                                        ; =>  This Inner Loop Header: Depth=2
	s_add_u32 s18, s4, s14
	s_addc_u32 s19, s5, s15
	s_add_u32 s14, s14, 1
	global_load_ubyte v4, v6, s[18:19]
	s_addc_u32 s15, s15, 0
	s_waitcnt vmcnt(0)
	v_and_b32_e32 v5, 0xffff, v4
	v_lshlrev_b64 v[4:5], s12, v[5:6]
	s_add_u32 s12, s12, 8
	s_addc_u32 s13, s13, 0
	s_cmp_lg_u32 s17, s14
	v_or_b32_e32 v17, v4, v17
	v_or_b32_e32 v18, v5, v18
	s_cbranch_scc1 .LBB6_881
.LBB6_882:                              ;   in Loop: Header=BB6_857 Depth=1
	s_mov_b32 s18, 0
	s_cbranch_execz .LBB6_884
	s_branch .LBB6_885
.LBB6_883:                              ;   in Loop: Header=BB6_857 Depth=1
                                        ; implicit-def: $vgpr17_vgpr18
                                        ; implicit-def: $sgpr18
.LBB6_884:                              ;   in Loop: Header=BB6_857 Depth=1
	global_load_dwordx2 v[17:18], v6, s[4:5]
	s_add_i32 s18, s17, -8
	s_add_u32 s4, s4, 8
	s_addc_u32 s5, s5, 0
.LBB6_885:                              ;   in Loop: Header=BB6_857 Depth=1
	s_cmp_gt_u32 s18, 7
	s_cbranch_scc1 .LBB6_890
; %bb.886:                              ;   in Loop: Header=BB6_857 Depth=1
	v_mov_b32_e32 v19, 0
	v_mov_b32_e32 v20, 0
	s_cmp_eq_u32 s18, 0
	s_cbranch_scc1 .LBB6_889
; %bb.887:                              ;   in Loop: Header=BB6_857 Depth=1
	s_mov_b64 s[12:13], 0
	s_mov_b64 s[14:15], 0
.LBB6_888:                              ;   Parent Loop BB6_857 Depth=1
                                        ; =>  This Inner Loop Header: Depth=2
	s_add_u32 s20, s4, s14
	s_addc_u32 s21, s5, s15
	s_add_u32 s14, s14, 1
	global_load_ubyte v4, v6, s[20:21]
	s_addc_u32 s15, s15, 0
	s_waitcnt vmcnt(0)
	v_and_b32_e32 v5, 0xffff, v4
	v_lshlrev_b64 v[4:5], s12, v[5:6]
	s_add_u32 s12, s12, 8
	s_addc_u32 s13, s13, 0
	s_cmp_lg_u32 s18, s14
	v_or_b32_e32 v19, v4, v19
	v_or_b32_e32 v20, v5, v20
	s_cbranch_scc1 .LBB6_888
.LBB6_889:                              ;   in Loop: Header=BB6_857 Depth=1
	s_mov_b32 s17, 0
	s_cbranch_execz .LBB6_891
	s_branch .LBB6_892
.LBB6_890:                              ;   in Loop: Header=BB6_857 Depth=1
                                        ; implicit-def: $sgpr17
.LBB6_891:                              ;   in Loop: Header=BB6_857 Depth=1
	global_load_dwordx2 v[19:20], v6, s[4:5]
	s_add_i32 s17, s18, -8
	s_add_u32 s4, s4, 8
	s_addc_u32 s5, s5, 0
.LBB6_892:                              ;   in Loop: Header=BB6_857 Depth=1
	s_cmp_gt_u32 s17, 7
	s_cbranch_scc1 .LBB6_897
; %bb.893:                              ;   in Loop: Header=BB6_857 Depth=1
	v_mov_b32_e32 v21, 0
	v_mov_b32_e32 v22, 0
	s_cmp_eq_u32 s17, 0
	s_cbranch_scc1 .LBB6_896
; %bb.894:                              ;   in Loop: Header=BB6_857 Depth=1
	s_mov_b64 s[12:13], 0
	s_mov_b64 s[14:15], 0
.LBB6_895:                              ;   Parent Loop BB6_857 Depth=1
                                        ; =>  This Inner Loop Header: Depth=2
	s_add_u32 s18, s4, s14
	s_addc_u32 s19, s5, s15
	s_add_u32 s14, s14, 1
	global_load_ubyte v4, v6, s[18:19]
	s_addc_u32 s15, s15, 0
	s_waitcnt vmcnt(0)
	v_and_b32_e32 v5, 0xffff, v4
	v_lshlrev_b64 v[4:5], s12, v[5:6]
	s_add_u32 s12, s12, 8
	s_addc_u32 s13, s13, 0
	s_cmp_lg_u32 s17, s14
	v_or_b32_e32 v21, v4, v21
	v_or_b32_e32 v22, v5, v22
	s_cbranch_scc1 .LBB6_895
.LBB6_896:                              ;   in Loop: Header=BB6_857 Depth=1
	s_mov_b32 s18, 0
	s_cbranch_execz .LBB6_898
	s_branch .LBB6_899
.LBB6_897:                              ;   in Loop: Header=BB6_857 Depth=1
                                        ; implicit-def: $vgpr21_vgpr22
                                        ; implicit-def: $sgpr18
.LBB6_898:                              ;   in Loop: Header=BB6_857 Depth=1
	global_load_dwordx2 v[21:22], v6, s[4:5]
	s_add_i32 s18, s17, -8
	s_add_u32 s4, s4, 8
	s_addc_u32 s5, s5, 0
.LBB6_899:                              ;   in Loop: Header=BB6_857 Depth=1
	s_cmp_gt_u32 s18, 7
	s_cbranch_scc1 .LBB6_904
; %bb.900:                              ;   in Loop: Header=BB6_857 Depth=1
	v_mov_b32_e32 v23, 0
	v_mov_b32_e32 v24, 0
	s_cmp_eq_u32 s18, 0
	s_cbranch_scc1 .LBB6_903
; %bb.901:                              ;   in Loop: Header=BB6_857 Depth=1
	s_mov_b64 s[12:13], 0
	s_mov_b64 s[14:15], s[4:5]
.LBB6_902:                              ;   Parent Loop BB6_857 Depth=1
                                        ; =>  This Inner Loop Header: Depth=2
	global_load_ubyte v4, v6, s[14:15]
	s_add_i32 s18, s18, -1
	s_waitcnt vmcnt(0)
	v_and_b32_e32 v5, 0xffff, v4
	v_lshlrev_b64 v[4:5], s12, v[5:6]
	s_add_u32 s12, s12, 8
	s_addc_u32 s13, s13, 0
	s_add_u32 s14, s14, 1
	s_addc_u32 s15, s15, 0
	s_cmp_lg_u32 s18, 0
	v_or_b32_e32 v23, v4, v23
	v_or_b32_e32 v24, v5, v24
	s_cbranch_scc1 .LBB6_902
.LBB6_903:                              ;   in Loop: Header=BB6_857 Depth=1
	s_cbranch_execz .LBB6_905
	s_branch .LBB6_906
.LBB6_904:                              ;   in Loop: Header=BB6_857 Depth=1
.LBB6_905:                              ;   in Loop: Header=BB6_857 Depth=1
	global_load_dwordx2 v[23:24], v6, s[4:5]
.LBB6_906:                              ;   in Loop: Header=BB6_857 Depth=1
	v_readfirstlane_b32 s4, v42
	s_waitcnt vmcnt(0)
	v_mov_b32_e32 v4, 0
	v_mov_b32_e32 v5, 0
	v_cmp_eq_u32_e64 s4, s4, v42
	s_and_saveexec_b32 s5, s4
	s_cbranch_execz .LBB6_912
; %bb.907:                              ;   in Loop: Header=BB6_857 Depth=1
	global_load_dwordx2 v[27:28], v6, s[38:39] offset:24 glc dlc
	s_waitcnt vmcnt(0)
	buffer_gl1_inv
	buffer_gl0_inv
	s_clause 0x1
	global_load_dwordx2 v[4:5], v6, s[38:39] offset:40
	global_load_dwordx2 v[9:10], v6, s[38:39]
	s_mov_b32 s12, exec_lo
	s_waitcnt vmcnt(1)
	v_and_b32_e32 v5, v5, v28
	v_and_b32_e32 v4, v4, v27
	v_mul_lo_u32 v5, v5, 24
	v_mul_hi_u32 v25, v4, 24
	v_mul_lo_u32 v4, v4, 24
	v_add_nc_u32_e32 v5, v25, v5
	s_waitcnt vmcnt(0)
	v_add_co_u32 v4, vcc_lo, v9, v4
	v_add_co_ci_u32_e32 v5, vcc_lo, v10, v5, vcc_lo
	global_load_dwordx2 v[25:26], v[4:5], off glc dlc
	s_waitcnt vmcnt(0)
	global_atomic_cmpswap_x2 v[4:5], v6, v[25:28], s[38:39] offset:24 glc
	s_waitcnt vmcnt(0)
	buffer_gl1_inv
	buffer_gl0_inv
	v_cmpx_ne_u64_e64 v[4:5], v[27:28]
	s_cbranch_execz .LBB6_911
; %bb.908:                              ;   in Loop: Header=BB6_857 Depth=1
	s_mov_b32 s13, 0
	.p2align	6
.LBB6_909:                              ;   Parent Loop BB6_857 Depth=1
                                        ; =>  This Inner Loop Header: Depth=2
	s_sleep 1
	s_clause 0x1
	global_load_dwordx2 v[9:10], v6, s[38:39] offset:40
	global_load_dwordx2 v[25:26], v6, s[38:39]
	v_mov_b32_e32 v28, v5
	v_mov_b32_e32 v27, v4
	s_waitcnt vmcnt(1)
	v_and_b32_e32 v4, v9, v27
	v_and_b32_e32 v9, v10, v28
	s_waitcnt vmcnt(0)
	v_mad_u64_u32 v[4:5], null, v4, 24, v[25:26]
	v_mad_u64_u32 v[9:10], null, v9, 24, v[5:6]
	v_mov_b32_e32 v5, v9
	global_load_dwordx2 v[25:26], v[4:5], off glc dlc
	s_waitcnt vmcnt(0)
	global_atomic_cmpswap_x2 v[4:5], v6, v[25:28], s[38:39] offset:24 glc
	s_waitcnt vmcnt(0)
	buffer_gl1_inv
	buffer_gl0_inv
	v_cmp_eq_u64_e32 vcc_lo, v[4:5], v[27:28]
	s_or_b32 s13, vcc_lo, s13
	s_andn2_b32 exec_lo, exec_lo, s13
	s_cbranch_execnz .LBB6_909
; %bb.910:                              ;   in Loop: Header=BB6_857 Depth=1
	s_or_b32 exec_lo, exec_lo, s13
.LBB6_911:                              ;   in Loop: Header=BB6_857 Depth=1
	s_or_b32 exec_lo, exec_lo, s12
.LBB6_912:                              ;   in Loop: Header=BB6_857 Depth=1
	s_or_b32 exec_lo, exec_lo, s5
	s_clause 0x1
	global_load_dwordx2 v[9:10], v6, s[38:39] offset:40
	global_load_dwordx4 v[25:28], v6, s[38:39]
	v_readfirstlane_b32 s12, v4
	v_readfirstlane_b32 s13, v5
	s_mov_b32 s5, exec_lo
	s_waitcnt vmcnt(1)
	v_readfirstlane_b32 s14, v9
	v_readfirstlane_b32 s15, v10
	s_and_b64 s[14:15], s[12:13], s[14:15]
	s_mul_i32 s17, s15, 24
	s_mul_hi_u32 s18, s14, 24
	s_mul_i32 s19, s14, 24
	s_add_i32 s18, s18, s17
	s_waitcnt vmcnt(0)
	v_add_co_u32 v29, vcc_lo, v25, s19
	v_add_co_ci_u32_e32 v30, vcc_lo, s18, v26, vcc_lo
	s_and_saveexec_b32 s17, s4
	s_cbranch_execz .LBB6_914
; %bb.913:                              ;   in Loop: Header=BB6_857 Depth=1
	v_mov_b32_e32 v5, s5
	global_store_dwordx4 v[29:30], v[5:8], off offset:8
.LBB6_914:                              ;   in Loop: Header=BB6_857 Depth=1
	s_or_b32 exec_lo, exec_lo, s17
	s_lshl_b64 s[14:15], s[14:15], 12
	v_cmp_gt_u64_e64 vcc_lo, s[8:9], 56
	v_or_b32_e32 v5, v2, v31
	v_add_co_u32 v27, s5, v27, s14
	v_add_co_ci_u32_e64 v28, s5, s15, v28, s5
	s_lshl_b32 s5, s10, 2
	v_or_b32_e32 v4, 0, v3
	v_cndmask_b32_e32 v2, v5, v2, vcc_lo
	s_add_i32 s5, s5, 28
	v_readfirstlane_b32 s14, v27
	s_and_b32 s5, s5, 0x1e0
	v_cndmask_b32_e32 v10, v4, v3, vcc_lo
	v_readfirstlane_b32 s15, v28
	v_and_or_b32 v9, 0xffffff1f, v2, s5
	global_store_dwordx4 v41, v[9:12], s[14:15]
	global_store_dwordx4 v41, v[13:16], s[14:15] offset:16
	global_store_dwordx4 v41, v[17:20], s[14:15] offset:32
	;; [unrolled: 1-line block ×3, first 2 shown]
	s_and_saveexec_b32 s5, s4
	s_cbranch_execz .LBB6_922
; %bb.915:                              ;   in Loop: Header=BB6_857 Depth=1
	s_clause 0x1
	global_load_dwordx2 v[13:14], v6, s[38:39] offset:32 glc dlc
	global_load_dwordx2 v[2:3], v6, s[38:39] offset:40
	v_mov_b32_e32 v11, s12
	v_mov_b32_e32 v12, s13
	s_waitcnt vmcnt(0)
	v_readfirstlane_b32 s14, v2
	v_readfirstlane_b32 s15, v3
	s_and_b64 s[14:15], s[14:15], s[12:13]
	s_mul_i32 s15, s15, 24
	s_mul_hi_u32 s17, s14, 24
	s_mul_i32 s14, s14, 24
	s_add_i32 s17, s17, s15
	v_add_co_u32 v9, vcc_lo, v25, s14
	v_add_co_ci_u32_e32 v10, vcc_lo, s17, v26, vcc_lo
	s_mov_b32 s14, exec_lo
	global_store_dwordx2 v[9:10], v[13:14], off
	s_waitcnt_vscnt null, 0x0
	global_atomic_cmpswap_x2 v[4:5], v6, v[11:14], s[38:39] offset:32 glc
	s_waitcnt vmcnt(0)
	v_cmpx_ne_u64_e64 v[4:5], v[13:14]
	s_cbranch_execz .LBB6_918
; %bb.916:                              ;   in Loop: Header=BB6_857 Depth=1
	s_mov_b32 s15, 0
.LBB6_917:                              ;   Parent Loop BB6_857 Depth=1
                                        ; =>  This Inner Loop Header: Depth=2
	v_mov_b32_e32 v2, s12
	v_mov_b32_e32 v3, s13
	s_sleep 1
	global_store_dwordx2 v[9:10], v[4:5], off
	s_waitcnt_vscnt null, 0x0
	global_atomic_cmpswap_x2 v[2:3], v6, v[2:5], s[38:39] offset:32 glc
	s_waitcnt vmcnt(0)
	v_cmp_eq_u64_e32 vcc_lo, v[2:3], v[4:5]
	v_mov_b32_e32 v5, v3
	v_mov_b32_e32 v4, v2
	s_or_b32 s15, vcc_lo, s15
	s_andn2_b32 exec_lo, exec_lo, s15
	s_cbranch_execnz .LBB6_917
.LBB6_918:                              ;   in Loop: Header=BB6_857 Depth=1
	s_or_b32 exec_lo, exec_lo, s14
	global_load_dwordx2 v[2:3], v6, s[38:39] offset:16
	s_mov_b32 s15, exec_lo
	s_mov_b32 s14, exec_lo
	v_mbcnt_lo_u32_b32 v4, s15, 0
	v_cmpx_eq_u32_e32 0, v4
	s_cbranch_execz .LBB6_920
; %bb.919:                              ;   in Loop: Header=BB6_857 Depth=1
	s_bcnt1_i32_b32 s15, s15
	v_mov_b32_e32 v5, s15
	s_waitcnt vmcnt(0)
	global_atomic_add_x2 v[2:3], v[5:6], off offset:8
.LBB6_920:                              ;   in Loop: Header=BB6_857 Depth=1
	s_or_b32 exec_lo, exec_lo, s14
	s_waitcnt vmcnt(0)
	global_load_dwordx2 v[9:10], v[2:3], off offset:16
	s_waitcnt vmcnt(0)
	v_cmp_eq_u64_e32 vcc_lo, 0, v[9:10]
	s_cbranch_vccnz .LBB6_922
; %bb.921:                              ;   in Loop: Header=BB6_857 Depth=1
	global_load_dword v5, v[2:3], off offset:24
	s_waitcnt vmcnt(0)
	v_and_b32_e32 v2, 0x7fffff, v5
	s_waitcnt_vscnt null, 0x0
	global_store_dwordx2 v[9:10], v[5:6], off
	v_readfirstlane_b32 m0, v2
	s_sendmsg sendmsg(MSG_INTERRUPT)
.LBB6_922:                              ;   in Loop: Header=BB6_857 Depth=1
	s_or_b32 exec_lo, exec_lo, s5
	v_add_co_u32 v2, vcc_lo, v27, v41
	v_add_co_ci_u32_e32 v3, vcc_lo, 0, v28, vcc_lo
	s_branch .LBB6_926
	.p2align	6
.LBB6_923:                              ;   in Loop: Header=BB6_926 Depth=2
	s_or_b32 exec_lo, exec_lo, s5
	v_readfirstlane_b32 s5, v4
	s_cmp_eq_u32 s5, 0
	s_cbranch_scc1 .LBB6_925
; %bb.924:                              ;   in Loop: Header=BB6_926 Depth=2
	s_sleep 1
	s_cbranch_execnz .LBB6_926
	s_branch .LBB6_928
	.p2align	6
.LBB6_925:                              ;   in Loop: Header=BB6_857 Depth=1
	s_branch .LBB6_928
.LBB6_926:                              ;   Parent Loop BB6_857 Depth=1
                                        ; =>  This Inner Loop Header: Depth=2
	v_mov_b32_e32 v4, 1
	s_and_saveexec_b32 s5, s4
	s_cbranch_execz .LBB6_923
; %bb.927:                              ;   in Loop: Header=BB6_926 Depth=2
	global_load_dword v4, v[29:30], off offset:20 glc dlc
	s_waitcnt vmcnt(0)
	buffer_gl1_inv
	buffer_gl0_inv
	v_and_b32_e32 v4, 1, v4
	s_branch .LBB6_923
.LBB6_928:                              ;   in Loop: Header=BB6_857 Depth=1
	global_load_dwordx4 v[2:5], v[2:3], off
	s_and_saveexec_b32 s5, s4
	s_cbranch_execz .LBB6_856
; %bb.929:                              ;   in Loop: Header=BB6_857 Depth=1
	s_clause 0x2
	global_load_dwordx2 v[4:5], v6, s[38:39] offset:40
	global_load_dwordx2 v[13:14], v6, s[38:39] offset:24 glc dlc
	global_load_dwordx2 v[11:12], v6, s[38:39]
	s_waitcnt vmcnt(2)
	v_add_co_u32 v15, vcc_lo, v4, 1
	v_add_co_ci_u32_e32 v16, vcc_lo, 0, v5, vcc_lo
	v_add_co_u32 v9, vcc_lo, v15, s12
	v_add_co_ci_u32_e32 v10, vcc_lo, s13, v16, vcc_lo
	v_cmp_eq_u64_e32 vcc_lo, 0, v[9:10]
	v_cndmask_b32_e32 v10, v10, v16, vcc_lo
	v_cndmask_b32_e32 v9, v9, v15, vcc_lo
	v_and_b32_e32 v5, v10, v5
	v_and_b32_e32 v4, v9, v4
	v_mul_lo_u32 v5, v5, 24
	v_mul_hi_u32 v15, v4, 24
	v_mul_lo_u32 v4, v4, 24
	v_add_nc_u32_e32 v5, v15, v5
	s_waitcnt vmcnt(0)
	v_add_co_u32 v4, vcc_lo, v11, v4
	v_mov_b32_e32 v11, v13
	v_add_co_ci_u32_e32 v5, vcc_lo, v12, v5, vcc_lo
	v_mov_b32_e32 v12, v14
	global_store_dwordx2 v[4:5], v[13:14], off
	s_waitcnt_vscnt null, 0x0
	global_atomic_cmpswap_x2 v[11:12], v6, v[9:12], s[38:39] offset:24 glc
	s_waitcnt vmcnt(0)
	v_cmp_ne_u64_e32 vcc_lo, v[11:12], v[13:14]
	s_and_b32 exec_lo, exec_lo, vcc_lo
	s_cbranch_execz .LBB6_856
; %bb.930:                              ;   in Loop: Header=BB6_857 Depth=1
	s_mov_b32 s4, 0
.LBB6_931:                              ;   Parent Loop BB6_857 Depth=1
                                        ; =>  This Inner Loop Header: Depth=2
	s_sleep 1
	global_store_dwordx2 v[4:5], v[11:12], off
	s_waitcnt_vscnt null, 0x0
	global_atomic_cmpswap_x2 v[13:14], v6, v[9:12], s[38:39] offset:24 glc
	s_waitcnt vmcnt(0)
	v_cmp_eq_u64_e32 vcc_lo, v[13:14], v[11:12]
	v_mov_b32_e32 v11, v13
	v_mov_b32_e32 v12, v14
	s_or_b32 s4, vcc_lo, s4
	s_andn2_b32 exec_lo, exec_lo, s4
	s_cbranch_execnz .LBB6_931
	s_branch .LBB6_856
.LBB6_932:
	s_mov_b32 s4, 0
	s_branch .LBB6_934
.LBB6_933:
	s_mov_b32 s4, -1
                                        ; implicit-def: $vgpr2_vgpr3
.LBB6_934:
	s_and_b32 vcc_lo, exec_lo, s4
	s_cbranch_vccz .LBB6_962
; %bb.935:
	v_readfirstlane_b32 s4, v42
	v_mov_b32_e32 v8, 0
	v_mov_b32_e32 v9, 0
	v_cmp_eq_u32_e64 s4, s4, v42
	s_and_saveexec_b32 s5, s4
	s_cbranch_execz .LBB6_941
; %bb.936:
	s_waitcnt vmcnt(0)
	v_mov_b32_e32 v2, 0
	s_mov_b32 s6, exec_lo
	global_load_dwordx2 v[5:6], v2, s[38:39] offset:24 glc dlc
	s_waitcnt vmcnt(0)
	buffer_gl1_inv
	buffer_gl0_inv
	s_clause 0x1
	global_load_dwordx2 v[3:4], v2, s[38:39] offset:40
	global_load_dwordx2 v[7:8], v2, s[38:39]
	s_waitcnt vmcnt(1)
	v_and_b32_e32 v4, v4, v6
	v_and_b32_e32 v3, v3, v5
	v_mul_lo_u32 v4, v4, 24
	v_mul_hi_u32 v9, v3, 24
	v_mul_lo_u32 v3, v3, 24
	v_add_nc_u32_e32 v4, v9, v4
	s_waitcnt vmcnt(0)
	v_add_co_u32 v3, vcc_lo, v7, v3
	v_add_co_ci_u32_e32 v4, vcc_lo, v8, v4, vcc_lo
	global_load_dwordx2 v[3:4], v[3:4], off glc dlc
	s_waitcnt vmcnt(0)
	global_atomic_cmpswap_x2 v[8:9], v2, v[3:6], s[38:39] offset:24 glc
	s_waitcnt vmcnt(0)
	buffer_gl1_inv
	buffer_gl0_inv
	v_cmpx_ne_u64_e64 v[8:9], v[5:6]
	s_cbranch_execz .LBB6_940
; %bb.937:
	s_mov_b32 s7, 0
.LBB6_938:                              ; =>This Inner Loop Header: Depth=1
	s_sleep 1
	s_clause 0x1
	global_load_dwordx2 v[3:4], v2, s[38:39] offset:40
	global_load_dwordx2 v[10:11], v2, s[38:39]
	v_mov_b32_e32 v5, v8
	v_mov_b32_e32 v6, v9
	s_waitcnt vmcnt(1)
	v_and_b32_e32 v3, v3, v5
	v_and_b32_e32 v4, v4, v6
	s_waitcnt vmcnt(0)
	v_mad_u64_u32 v[7:8], null, v3, 24, v[10:11]
	v_mov_b32_e32 v3, v8
	v_mad_u64_u32 v[3:4], null, v4, 24, v[3:4]
	v_mov_b32_e32 v8, v3
	global_load_dwordx2 v[3:4], v[7:8], off glc dlc
	s_waitcnt vmcnt(0)
	global_atomic_cmpswap_x2 v[8:9], v2, v[3:6], s[38:39] offset:24 glc
	s_waitcnt vmcnt(0)
	buffer_gl1_inv
	buffer_gl0_inv
	v_cmp_eq_u64_e32 vcc_lo, v[8:9], v[5:6]
	s_or_b32 s7, vcc_lo, s7
	s_andn2_b32 exec_lo, exec_lo, s7
	s_cbranch_execnz .LBB6_938
; %bb.939:
	s_or_b32 exec_lo, exec_lo, s7
.LBB6_940:
	s_or_b32 exec_lo, exec_lo, s6
.LBB6_941:
	s_or_b32 exec_lo, exec_lo, s5
	s_waitcnt vmcnt(0)
	v_mov_b32_e32 v2, 0
	v_readfirstlane_b32 s6, v8
	v_readfirstlane_b32 s7, v9
	s_mov_b32 s5, exec_lo
	s_clause 0x1
	global_load_dwordx2 v[10:11], v2, s[38:39] offset:40
	global_load_dwordx4 v[4:7], v2, s[38:39]
	s_waitcnt vmcnt(1)
	v_readfirstlane_b32 s8, v10
	v_readfirstlane_b32 s9, v11
	s_and_b64 s[8:9], s[6:7], s[8:9]
	s_mul_i32 s10, s9, 24
	s_mul_hi_u32 s11, s8, 24
	s_mul_i32 s12, s8, 24
	s_add_i32 s11, s11, s10
	s_waitcnt vmcnt(0)
	v_add_co_u32 v8, vcc_lo, v4, s12
	v_add_co_ci_u32_e32 v9, vcc_lo, s11, v5, vcc_lo
	s_and_saveexec_b32 s10, s4
	s_cbranch_execz .LBB6_943
; %bb.942:
	v_mov_b32_e32 v10, s5
	v_mov_b32_e32 v11, v2
	;; [unrolled: 1-line block ×4, first 2 shown]
	global_store_dwordx4 v[8:9], v[10:13], off offset:8
.LBB6_943:
	s_or_b32 exec_lo, exec_lo, s10
	s_lshl_b64 s[8:9], s[8:9], 12
	v_and_or_b32 v0, 0xffffff1f, v0, 32
	v_add_co_u32 v6, vcc_lo, v6, s8
	v_add_co_ci_u32_e32 v7, vcc_lo, s9, v7, vcc_lo
	s_mov_b32 s8, 0
	v_readfirstlane_b32 s12, v6
	s_mov_b32 s11, s8
	v_add_co_u32 v6, vcc_lo, v6, v41
	s_mov_b32 s9, s8
	s_mov_b32 s10, s8
	v_mov_b32_e32 v3, v2
	v_readfirstlane_b32 s13, v7
	v_mov_b32_e32 v13, s11
	v_add_co_ci_u32_e32 v7, vcc_lo, 0, v7, vcc_lo
	v_mov_b32_e32 v12, s10
	v_mov_b32_e32 v11, s9
	;; [unrolled: 1-line block ×3, first 2 shown]
	global_store_dwordx4 v41, v[0:3], s[12:13]
	global_store_dwordx4 v41, v[10:13], s[12:13] offset:16
	global_store_dwordx4 v41, v[10:13], s[12:13] offset:32
	;; [unrolled: 1-line block ×3, first 2 shown]
	s_and_saveexec_b32 s5, s4
	s_cbranch_execz .LBB6_951
; %bb.944:
	v_mov_b32_e32 v10, 0
	v_mov_b32_e32 v11, s6
	;; [unrolled: 1-line block ×3, first 2 shown]
	s_clause 0x1
	global_load_dwordx2 v[13:14], v10, s[38:39] offset:32 glc dlc
	global_load_dwordx2 v[0:1], v10, s[38:39] offset:40
	s_waitcnt vmcnt(0)
	v_readfirstlane_b32 s8, v0
	v_readfirstlane_b32 s9, v1
	s_and_b64 s[8:9], s[8:9], s[6:7]
	s_mul_i32 s9, s9, 24
	s_mul_hi_u32 s10, s8, 24
	s_mul_i32 s8, s8, 24
	s_add_i32 s10, s10, s9
	v_add_co_u32 v4, vcc_lo, v4, s8
	v_add_co_ci_u32_e32 v5, vcc_lo, s10, v5, vcc_lo
	s_mov_b32 s8, exec_lo
	global_store_dwordx2 v[4:5], v[13:14], off
	s_waitcnt_vscnt null, 0x0
	global_atomic_cmpswap_x2 v[2:3], v10, v[11:14], s[38:39] offset:32 glc
	s_waitcnt vmcnt(0)
	v_cmpx_ne_u64_e64 v[2:3], v[13:14]
	s_cbranch_execz .LBB6_947
; %bb.945:
	s_mov_b32 s9, 0
.LBB6_946:                              ; =>This Inner Loop Header: Depth=1
	v_mov_b32_e32 v0, s6
	v_mov_b32_e32 v1, s7
	s_sleep 1
	global_store_dwordx2 v[4:5], v[2:3], off
	s_waitcnt_vscnt null, 0x0
	global_atomic_cmpswap_x2 v[0:1], v10, v[0:3], s[38:39] offset:32 glc
	s_waitcnt vmcnt(0)
	v_cmp_eq_u64_e32 vcc_lo, v[0:1], v[2:3]
	v_mov_b32_e32 v3, v1
	v_mov_b32_e32 v2, v0
	s_or_b32 s9, vcc_lo, s9
	s_andn2_b32 exec_lo, exec_lo, s9
	s_cbranch_execnz .LBB6_946
.LBB6_947:
	s_or_b32 exec_lo, exec_lo, s8
	v_mov_b32_e32 v3, 0
	s_mov_b32 s9, exec_lo
	s_mov_b32 s8, exec_lo
	v_mbcnt_lo_u32_b32 v2, s9, 0
	global_load_dwordx2 v[0:1], v3, s[38:39] offset:16
	v_cmpx_eq_u32_e32 0, v2
	s_cbranch_execz .LBB6_949
; %bb.948:
	s_bcnt1_i32_b32 s9, s9
	v_mov_b32_e32 v2, s9
	s_waitcnt vmcnt(0)
	global_atomic_add_x2 v[0:1], v[2:3], off offset:8
.LBB6_949:
	s_or_b32 exec_lo, exec_lo, s8
	s_waitcnt vmcnt(0)
	global_load_dwordx2 v[2:3], v[0:1], off offset:16
	s_waitcnt vmcnt(0)
	v_cmp_eq_u64_e32 vcc_lo, 0, v[2:3]
	s_cbranch_vccnz .LBB6_951
; %bb.950:
	global_load_dword v0, v[0:1], off offset:24
	v_mov_b32_e32 v1, 0
	s_waitcnt vmcnt(0)
	v_and_b32_e32 v4, 0x7fffff, v0
	s_waitcnt_vscnt null, 0x0
	global_store_dwordx2 v[2:3], v[0:1], off
	v_readfirstlane_b32 m0, v4
	s_sendmsg sendmsg(MSG_INTERRUPT)
.LBB6_951:
	s_or_b32 exec_lo, exec_lo, s5
	s_branch .LBB6_955
	.p2align	6
.LBB6_952:                              ;   in Loop: Header=BB6_955 Depth=1
	s_or_b32 exec_lo, exec_lo, s5
	v_readfirstlane_b32 s5, v0
	s_cmp_eq_u32 s5, 0
	s_cbranch_scc1 .LBB6_954
; %bb.953:                              ;   in Loop: Header=BB6_955 Depth=1
	s_sleep 1
	s_cbranch_execnz .LBB6_955
	s_branch .LBB6_957
.LBB6_954:
	s_branch .LBB6_957
.LBB6_955:                              ; =>This Inner Loop Header: Depth=1
	v_mov_b32_e32 v0, 1
	s_and_saveexec_b32 s5, s4
	s_cbranch_execz .LBB6_952
; %bb.956:                              ;   in Loop: Header=BB6_955 Depth=1
	global_load_dword v0, v[8:9], off offset:20 glc dlc
	s_waitcnt vmcnt(0)
	buffer_gl1_inv
	buffer_gl0_inv
	v_and_b32_e32 v0, 1, v0
	s_branch .LBB6_952
.LBB6_957:
	global_load_dwordx2 v[2:3], v[6:7], off
	s_and_saveexec_b32 s5, s4
	s_cbranch_execz .LBB6_961
; %bb.958:
	v_mov_b32_e32 v8, 0
	s_clause 0x2
	global_load_dwordx2 v[0:1], v8, s[38:39] offset:40
	global_load_dwordx2 v[9:10], v8, s[38:39] offset:24 glc dlc
	global_load_dwordx2 v[6:7], v8, s[38:39]
	s_waitcnt vmcnt(2)
	v_add_co_u32 v11, vcc_lo, v0, 1
	v_add_co_ci_u32_e32 v12, vcc_lo, 0, v1, vcc_lo
	v_add_co_u32 v4, vcc_lo, v11, s6
	v_add_co_ci_u32_e32 v5, vcc_lo, s7, v12, vcc_lo
	v_cmp_eq_u64_e32 vcc_lo, 0, v[4:5]
	v_cndmask_b32_e32 v5, v5, v12, vcc_lo
	v_cndmask_b32_e32 v4, v4, v11, vcc_lo
	v_and_b32_e32 v1, v5, v1
	v_and_b32_e32 v0, v4, v0
	v_mul_lo_u32 v1, v1, 24
	v_mul_hi_u32 v11, v0, 24
	v_mul_lo_u32 v0, v0, 24
	v_add_nc_u32_e32 v1, v11, v1
	s_waitcnt vmcnt(0)
	v_add_co_u32 v0, vcc_lo, v6, v0
	v_mov_b32_e32 v6, v9
	v_add_co_ci_u32_e32 v1, vcc_lo, v7, v1, vcc_lo
	v_mov_b32_e32 v7, v10
	global_store_dwordx2 v[0:1], v[9:10], off
	s_waitcnt_vscnt null, 0x0
	global_atomic_cmpswap_x2 v[6:7], v8, v[4:7], s[38:39] offset:24 glc
	s_waitcnt vmcnt(0)
	v_cmp_ne_u64_e32 vcc_lo, v[6:7], v[9:10]
	s_and_b32 exec_lo, exec_lo, vcc_lo
	s_cbranch_execz .LBB6_961
; %bb.959:
	s_mov_b32 s4, 0
.LBB6_960:                              ; =>This Inner Loop Header: Depth=1
	s_sleep 1
	global_store_dwordx2 v[0:1], v[6:7], off
	s_waitcnt_vscnt null, 0x0
	global_atomic_cmpswap_x2 v[9:10], v8, v[4:7], s[38:39] offset:24 glc
	s_waitcnt vmcnt(0)
	v_cmp_eq_u64_e32 vcc_lo, v[9:10], v[6:7]
	v_mov_b32_e32 v6, v9
	v_mov_b32_e32 v7, v10
	s_or_b32 s4, vcc_lo, s4
	s_andn2_b32 exec_lo, exec_lo, s4
	s_cbranch_execnz .LBB6_960
.LBB6_961:
	s_or_b32 exec_lo, exec_lo, s5
.LBB6_962:
	v_readfirstlane_b32 s4, v42
	s_waitcnt vmcnt(0)
	v_mov_b32_e32 v0, 0
	v_mov_b32_e32 v1, 0
	v_cmp_eq_u32_e64 s4, s4, v42
	s_and_saveexec_b32 s5, s4
	s_cbranch_execz .LBB6_968
; %bb.963:
	v_mov_b32_e32 v4, 0
	s_mov_b32 s6, exec_lo
	global_load_dwordx2 v[7:8], v4, s[38:39] offset:24 glc dlc
	s_waitcnt vmcnt(0)
	buffer_gl1_inv
	buffer_gl0_inv
	s_clause 0x1
	global_load_dwordx2 v[0:1], v4, s[38:39] offset:40
	global_load_dwordx2 v[5:6], v4, s[38:39]
	s_waitcnt vmcnt(1)
	v_and_b32_e32 v1, v1, v8
	v_and_b32_e32 v0, v0, v7
	v_mul_lo_u32 v1, v1, 24
	v_mul_hi_u32 v9, v0, 24
	v_mul_lo_u32 v0, v0, 24
	v_add_nc_u32_e32 v1, v9, v1
	s_waitcnt vmcnt(0)
	v_add_co_u32 v0, vcc_lo, v5, v0
	v_add_co_ci_u32_e32 v1, vcc_lo, v6, v1, vcc_lo
	global_load_dwordx2 v[5:6], v[0:1], off glc dlc
	s_waitcnt vmcnt(0)
	global_atomic_cmpswap_x2 v[0:1], v4, v[5:8], s[38:39] offset:24 glc
	s_waitcnt vmcnt(0)
	buffer_gl1_inv
	buffer_gl0_inv
	v_cmpx_ne_u64_e64 v[0:1], v[7:8]
	s_cbranch_execz .LBB6_967
; %bb.964:
	s_mov_b32 s7, 0
.LBB6_965:                              ; =>This Inner Loop Header: Depth=1
	s_sleep 1
	s_clause 0x1
	global_load_dwordx2 v[5:6], v4, s[38:39] offset:40
	global_load_dwordx2 v[9:10], v4, s[38:39]
	v_mov_b32_e32 v8, v1
	v_mov_b32_e32 v7, v0
	s_waitcnt vmcnt(1)
	v_and_b32_e32 v0, v5, v7
	v_and_b32_e32 v5, v6, v8
	s_waitcnt vmcnt(0)
	v_mad_u64_u32 v[0:1], null, v0, 24, v[9:10]
	v_mad_u64_u32 v[5:6], null, v5, 24, v[1:2]
	v_mov_b32_e32 v1, v5
	global_load_dwordx2 v[5:6], v[0:1], off glc dlc
	s_waitcnt vmcnt(0)
	global_atomic_cmpswap_x2 v[0:1], v4, v[5:8], s[38:39] offset:24 glc
	s_waitcnt vmcnt(0)
	buffer_gl1_inv
	buffer_gl0_inv
	v_cmp_eq_u64_e32 vcc_lo, v[0:1], v[7:8]
	s_or_b32 s7, vcc_lo, s7
	s_andn2_b32 exec_lo, exec_lo, s7
	s_cbranch_execnz .LBB6_965
; %bb.966:
	s_or_b32 exec_lo, exec_lo, s7
.LBB6_967:
	s_or_b32 exec_lo, exec_lo, s6
.LBB6_968:
	s_or_b32 exec_lo, exec_lo, s5
	v_mov_b32_e32 v5, 0
	v_readfirstlane_b32 s6, v0
	v_readfirstlane_b32 s7, v1
	s_mov_b32 s5, exec_lo
	s_clause 0x1
	global_load_dwordx2 v[10:11], v5, s[38:39] offset:40
	global_load_dwordx4 v[6:9], v5, s[38:39]
	s_waitcnt vmcnt(1)
	v_readfirstlane_b32 s8, v10
	v_readfirstlane_b32 s9, v11
	s_and_b64 s[8:9], s[6:7], s[8:9]
	s_mul_i32 s10, s9, 24
	s_mul_hi_u32 s11, s8, 24
	s_mul_i32 s12, s8, 24
	s_add_i32 s11, s11, s10
	s_waitcnt vmcnt(0)
	v_add_co_u32 v10, vcc_lo, v6, s12
	v_add_co_ci_u32_e32 v11, vcc_lo, s11, v7, vcc_lo
	s_and_saveexec_b32 s10, s4
	s_cbranch_execz .LBB6_970
; %bb.969:
	v_mov_b32_e32 v4, s5
	v_mov_b32_e32 v13, v5
	;; [unrolled: 1-line block ×5, first 2 shown]
	global_store_dwordx4 v[10:11], v[12:15], off offset:8
.LBB6_970:
	s_or_b32 exec_lo, exec_lo, s10
	s_lshl_b64 s[8:9], s[8:9], 12
	v_and_or_b32 v2, 0xffffff1d, v2, 34
	v_add_co_u32 v0, vcc_lo, v8, s8
	v_add_co_ci_u32_e32 v1, vcc_lo, s9, v9, vcc_lo
	s_mov_b32 s8, 0
	v_mov_b32_e32 v4, 0x444
	s_mov_b32 s11, s8
	s_mov_b32 s9, s8
	;; [unrolled: 1-line block ×3, first 2 shown]
	v_readfirstlane_b32 s12, v0
	v_readfirstlane_b32 s13, v1
	v_mov_b32_e32 v15, s11
	v_mov_b32_e32 v14, s10
	;; [unrolled: 1-line block ×4, first 2 shown]
	global_store_dwordx4 v41, v[2:5], s[12:13]
	global_store_dwordx4 v41, v[12:15], s[12:13] offset:16
	global_store_dwordx4 v41, v[12:15], s[12:13] offset:32
	;; [unrolled: 1-line block ×3, first 2 shown]
	s_and_saveexec_b32 s5, s4
	s_cbranch_execz .LBB6_978
; %bb.971:
	v_mov_b32_e32 v8, 0
	v_mov_b32_e32 v12, s6
	;; [unrolled: 1-line block ×3, first 2 shown]
	s_clause 0x1
	global_load_dwordx2 v[14:15], v8, s[38:39] offset:32 glc dlc
	global_load_dwordx2 v[0:1], v8, s[38:39] offset:40
	s_waitcnt vmcnt(0)
	v_readfirstlane_b32 s8, v0
	v_readfirstlane_b32 s9, v1
	s_and_b64 s[8:9], s[8:9], s[6:7]
	s_mul_i32 s9, s9, 24
	s_mul_hi_u32 s10, s8, 24
	s_mul_i32 s8, s8, 24
	s_add_i32 s10, s10, s9
	v_add_co_u32 v4, vcc_lo, v6, s8
	v_add_co_ci_u32_e32 v5, vcc_lo, s10, v7, vcc_lo
	s_mov_b32 s8, exec_lo
	global_store_dwordx2 v[4:5], v[14:15], off
	s_waitcnt_vscnt null, 0x0
	global_atomic_cmpswap_x2 v[2:3], v8, v[12:15], s[38:39] offset:32 glc
	s_waitcnt vmcnt(0)
	v_cmpx_ne_u64_e64 v[2:3], v[14:15]
	s_cbranch_execz .LBB6_974
; %bb.972:
	s_mov_b32 s9, 0
.LBB6_973:                              ; =>This Inner Loop Header: Depth=1
	v_mov_b32_e32 v0, s6
	v_mov_b32_e32 v1, s7
	s_sleep 1
	global_store_dwordx2 v[4:5], v[2:3], off
	s_waitcnt_vscnt null, 0x0
	global_atomic_cmpswap_x2 v[0:1], v8, v[0:3], s[38:39] offset:32 glc
	s_waitcnt vmcnt(0)
	v_cmp_eq_u64_e32 vcc_lo, v[0:1], v[2:3]
	v_mov_b32_e32 v3, v1
	v_mov_b32_e32 v2, v0
	s_or_b32 s9, vcc_lo, s9
	s_andn2_b32 exec_lo, exec_lo, s9
	s_cbranch_execnz .LBB6_973
.LBB6_974:
	s_or_b32 exec_lo, exec_lo, s8
	v_mov_b32_e32 v3, 0
	s_mov_b32 s9, exec_lo
	s_mov_b32 s8, exec_lo
	v_mbcnt_lo_u32_b32 v2, s9, 0
	global_load_dwordx2 v[0:1], v3, s[38:39] offset:16
	v_cmpx_eq_u32_e32 0, v2
	s_cbranch_execz .LBB6_976
; %bb.975:
	s_bcnt1_i32_b32 s9, s9
	v_mov_b32_e32 v2, s9
	s_waitcnt vmcnt(0)
	global_atomic_add_x2 v[0:1], v[2:3], off offset:8
.LBB6_976:
	s_or_b32 exec_lo, exec_lo, s8
	s_waitcnt vmcnt(0)
	global_load_dwordx2 v[2:3], v[0:1], off offset:16
	s_waitcnt vmcnt(0)
	v_cmp_eq_u64_e32 vcc_lo, 0, v[2:3]
	s_cbranch_vccnz .LBB6_978
; %bb.977:
	global_load_dword v0, v[0:1], off offset:24
	v_mov_b32_e32 v1, 0
	s_waitcnt vmcnt(0)
	v_and_b32_e32 v4, 0x7fffff, v0
	s_waitcnt_vscnt null, 0x0
	global_store_dwordx2 v[2:3], v[0:1], off
	v_readfirstlane_b32 m0, v4
	s_sendmsg sendmsg(MSG_INTERRUPT)
.LBB6_978:
	s_or_b32 exec_lo, exec_lo, s5
	s_branch .LBB6_982
	.p2align	6
.LBB6_979:                              ;   in Loop: Header=BB6_982 Depth=1
	s_or_b32 exec_lo, exec_lo, s5
	v_readfirstlane_b32 s5, v0
	s_cmp_eq_u32 s5, 0
	s_cbranch_scc1 .LBB6_981
; %bb.980:                              ;   in Loop: Header=BB6_982 Depth=1
	s_sleep 1
	s_cbranch_execnz .LBB6_982
	s_branch .LBB6_984
	.p2align	6
.LBB6_981:
	s_branch .LBB6_984
.LBB6_982:                              ; =>This Inner Loop Header: Depth=1
	v_mov_b32_e32 v0, 1
	s_and_saveexec_b32 s5, s4
	s_cbranch_execz .LBB6_979
; %bb.983:                              ;   in Loop: Header=BB6_982 Depth=1
	global_load_dword v0, v[10:11], off offset:20 glc dlc
	s_waitcnt vmcnt(0)
	buffer_gl1_inv
	buffer_gl0_inv
	v_and_b32_e32 v0, 1, v0
	s_branch .LBB6_979
.LBB6_984:
	s_and_saveexec_b32 s5, s4
	s_cbranch_execz .LBB6_988
; %bb.985:
	v_mov_b32_e32 v6, 0
	s_clause 0x2
	global_load_dwordx2 v[2:3], v6, s[38:39] offset:40
	global_load_dwordx2 v[7:8], v6, s[38:39] offset:24 glc dlc
	global_load_dwordx2 v[4:5], v6, s[38:39]
	s_waitcnt vmcnt(2)
	v_add_co_u32 v9, vcc_lo, v2, 1
	v_add_co_ci_u32_e32 v10, vcc_lo, 0, v3, vcc_lo
	v_add_co_u32 v0, vcc_lo, v9, s6
	v_add_co_ci_u32_e32 v1, vcc_lo, s7, v10, vcc_lo
	v_cmp_eq_u64_e32 vcc_lo, 0, v[0:1]
	v_cndmask_b32_e32 v1, v1, v10, vcc_lo
	v_cndmask_b32_e32 v0, v0, v9, vcc_lo
	v_and_b32_e32 v3, v1, v3
	v_and_b32_e32 v2, v0, v2
	v_mul_lo_u32 v3, v3, 24
	v_mul_hi_u32 v9, v2, 24
	v_mul_lo_u32 v2, v2, 24
	v_add_nc_u32_e32 v3, v9, v3
	s_waitcnt vmcnt(0)
	v_add_co_u32 v4, vcc_lo, v4, v2
	v_mov_b32_e32 v2, v7
	v_add_co_ci_u32_e32 v5, vcc_lo, v5, v3, vcc_lo
	v_mov_b32_e32 v3, v8
	global_store_dwordx2 v[4:5], v[7:8], off
	s_waitcnt_vscnt null, 0x0
	global_atomic_cmpswap_x2 v[2:3], v6, v[0:3], s[38:39] offset:24 glc
	s_waitcnt vmcnt(0)
	v_cmp_ne_u64_e32 vcc_lo, v[2:3], v[7:8]
	s_and_b32 exec_lo, exec_lo, vcc_lo
	s_cbranch_execz .LBB6_988
; %bb.986:
	s_mov_b32 s4, 0
.LBB6_987:                              ; =>This Inner Loop Header: Depth=1
	s_sleep 1
	global_store_dwordx2 v[4:5], v[2:3], off
	s_waitcnt_vscnt null, 0x0
	global_atomic_cmpswap_x2 v[7:8], v6, v[0:3], s[38:39] offset:24 glc
	s_waitcnt vmcnt(0)
	v_cmp_eq_u64_e32 vcc_lo, v[7:8], v[2:3]
	v_mov_b32_e32 v2, v7
	v_mov_b32_e32 v3, v8
	s_or_b32 s4, vcc_lo, s4
	s_andn2_b32 exec_lo, exec_lo, s4
	s_cbranch_execnz .LBB6_987
.LBB6_988:
	s_or_b32 exec_lo, exec_lo, s5
	v_readfirstlane_b32 s4, v42
	v_mov_b32_e32 v6, 0
	v_mov_b32_e32 v7, 0
	v_cmp_eq_u32_e64 s4, s4, v42
	s_and_saveexec_b32 s5, s4
	s_cbranch_execz .LBB6_994
; %bb.989:
	v_mov_b32_e32 v0, 0
	s_mov_b32 s6, exec_lo
	global_load_dwordx2 v[3:4], v0, s[38:39] offset:24 glc dlc
	s_waitcnt vmcnt(0)
	buffer_gl1_inv
	buffer_gl0_inv
	s_clause 0x1
	global_load_dwordx2 v[1:2], v0, s[38:39] offset:40
	global_load_dwordx2 v[5:6], v0, s[38:39]
	s_waitcnt vmcnt(1)
	v_and_b32_e32 v2, v2, v4
	v_and_b32_e32 v1, v1, v3
	v_mul_lo_u32 v2, v2, 24
	v_mul_hi_u32 v7, v1, 24
	v_mul_lo_u32 v1, v1, 24
	v_add_nc_u32_e32 v2, v7, v2
	s_waitcnt vmcnt(0)
	v_add_co_u32 v1, vcc_lo, v5, v1
	v_add_co_ci_u32_e32 v2, vcc_lo, v6, v2, vcc_lo
	global_load_dwordx2 v[1:2], v[1:2], off glc dlc
	s_waitcnt vmcnt(0)
	global_atomic_cmpswap_x2 v[6:7], v0, v[1:4], s[38:39] offset:24 glc
	s_waitcnt vmcnt(0)
	buffer_gl1_inv
	buffer_gl0_inv
	v_cmpx_ne_u64_e64 v[6:7], v[3:4]
	s_cbranch_execz .LBB6_993
; %bb.990:
	s_mov_b32 s7, 0
.LBB6_991:                              ; =>This Inner Loop Header: Depth=1
	s_sleep 1
	s_clause 0x1
	global_load_dwordx2 v[1:2], v0, s[38:39] offset:40
	global_load_dwordx2 v[8:9], v0, s[38:39]
	v_mov_b32_e32 v3, v6
	v_mov_b32_e32 v4, v7
	s_waitcnt vmcnt(1)
	v_and_b32_e32 v1, v1, v3
	v_and_b32_e32 v2, v2, v4
	s_waitcnt vmcnt(0)
	v_mad_u64_u32 v[5:6], null, v1, 24, v[8:9]
	v_mov_b32_e32 v1, v6
	v_mad_u64_u32 v[1:2], null, v2, 24, v[1:2]
	v_mov_b32_e32 v6, v1
	global_load_dwordx2 v[1:2], v[5:6], off glc dlc
	s_waitcnt vmcnt(0)
	global_atomic_cmpswap_x2 v[6:7], v0, v[1:4], s[38:39] offset:24 glc
	s_waitcnt vmcnt(0)
	buffer_gl1_inv
	buffer_gl0_inv
	v_cmp_eq_u64_e32 vcc_lo, v[6:7], v[3:4]
	s_or_b32 s7, vcc_lo, s7
	s_andn2_b32 exec_lo, exec_lo, s7
	s_cbranch_execnz .LBB6_991
; %bb.992:
	s_or_b32 exec_lo, exec_lo, s7
.LBB6_993:
	s_or_b32 exec_lo, exec_lo, s6
.LBB6_994:
	s_or_b32 exec_lo, exec_lo, s5
	v_mov_b32_e32 v5, 0
	v_readfirstlane_b32 s6, v6
	v_readfirstlane_b32 s7, v7
	s_mov_b32 s5, exec_lo
	s_clause 0x1
	global_load_dwordx2 v[8:9], v5, s[38:39] offset:40
	global_load_dwordx4 v[0:3], v5, s[38:39]
	s_waitcnt vmcnt(1)
	v_readfirstlane_b32 s8, v8
	v_readfirstlane_b32 s9, v9
	s_and_b64 s[8:9], s[6:7], s[8:9]
	s_mul_i32 s10, s9, 24
	s_mul_hi_u32 s11, s8, 24
	s_mul_i32 s12, s8, 24
	s_add_i32 s11, s11, s10
	s_waitcnt vmcnt(0)
	v_add_co_u32 v8, vcc_lo, v0, s12
	v_add_co_ci_u32_e32 v9, vcc_lo, s11, v1, vcc_lo
	s_and_saveexec_b32 s10, s4
	s_cbranch_execz .LBB6_996
; %bb.995:
	v_mov_b32_e32 v4, s5
	v_mov_b32_e32 v6, 2
	;; [unrolled: 1-line block ×3, first 2 shown]
	global_store_dwordx4 v[8:9], v[4:7], off offset:8
.LBB6_996:
	s_or_b32 exec_lo, exec_lo, s10
	s_lshl_b64 s[8:9], s[8:9], 12
	v_mov_b32_e32 v4, 33
	v_add_co_u32 v2, vcc_lo, v2, s8
	v_add_co_ci_u32_e32 v3, vcc_lo, s9, v3, vcc_lo
	s_mov_b32 s8, 0
	v_add_co_u32 v10, vcc_lo, v2, v41
	s_mov_b32 s11, s8
	s_mov_b32 s9, s8
	s_mov_b32 s10, s8
	v_mov_b32_e32 v6, v5
	v_mov_b32_e32 v7, v5
	v_readfirstlane_b32 s12, v2
	v_readfirstlane_b32 s13, v3
	v_mov_b32_e32 v15, s11
	v_add_co_ci_u32_e32 v11, vcc_lo, 0, v3, vcc_lo
	v_mov_b32_e32 v14, s10
	v_mov_b32_e32 v13, s9
	v_mov_b32_e32 v12, s8
	global_store_dwordx4 v41, v[4:7], s[12:13]
	global_store_dwordx4 v41, v[12:15], s[12:13] offset:16
	global_store_dwordx4 v41, v[12:15], s[12:13] offset:32
	;; [unrolled: 1-line block ×3, first 2 shown]
	s_and_saveexec_b32 s5, s4
	s_cbranch_execz .LBB6_1004
; %bb.997:
	v_mov_b32_e32 v6, 0
	v_mov_b32_e32 v12, s6
	;; [unrolled: 1-line block ×3, first 2 shown]
	s_clause 0x1
	global_load_dwordx2 v[14:15], v6, s[38:39] offset:32 glc dlc
	global_load_dwordx2 v[2:3], v6, s[38:39] offset:40
	s_waitcnt vmcnt(0)
	v_readfirstlane_b32 s8, v2
	v_readfirstlane_b32 s9, v3
	s_and_b64 s[8:9], s[8:9], s[6:7]
	s_mul_i32 s9, s9, 24
	s_mul_hi_u32 s10, s8, 24
	s_mul_i32 s8, s8, 24
	s_add_i32 s10, s10, s9
	v_add_co_u32 v4, vcc_lo, v0, s8
	v_add_co_ci_u32_e32 v5, vcc_lo, s10, v1, vcc_lo
	s_mov_b32 s8, exec_lo
	global_store_dwordx2 v[4:5], v[14:15], off
	s_waitcnt_vscnt null, 0x0
	global_atomic_cmpswap_x2 v[2:3], v6, v[12:15], s[38:39] offset:32 glc
	s_waitcnt vmcnt(0)
	v_cmpx_ne_u64_e64 v[2:3], v[14:15]
	s_cbranch_execz .LBB6_1000
; %bb.998:
	s_mov_b32 s9, 0
.LBB6_999:                              ; =>This Inner Loop Header: Depth=1
	v_mov_b32_e32 v0, s6
	v_mov_b32_e32 v1, s7
	s_sleep 1
	global_store_dwordx2 v[4:5], v[2:3], off
	s_waitcnt_vscnt null, 0x0
	global_atomic_cmpswap_x2 v[0:1], v6, v[0:3], s[38:39] offset:32 glc
	s_waitcnt vmcnt(0)
	v_cmp_eq_u64_e32 vcc_lo, v[0:1], v[2:3]
	v_mov_b32_e32 v3, v1
	v_mov_b32_e32 v2, v0
	s_or_b32 s9, vcc_lo, s9
	s_andn2_b32 exec_lo, exec_lo, s9
	s_cbranch_execnz .LBB6_999
.LBB6_1000:
	s_or_b32 exec_lo, exec_lo, s8
	v_mov_b32_e32 v3, 0
	s_mov_b32 s9, exec_lo
	s_mov_b32 s8, exec_lo
	v_mbcnt_lo_u32_b32 v2, s9, 0
	global_load_dwordx2 v[0:1], v3, s[38:39] offset:16
	v_cmpx_eq_u32_e32 0, v2
	s_cbranch_execz .LBB6_1002
; %bb.1001:
	s_bcnt1_i32_b32 s9, s9
	v_mov_b32_e32 v2, s9
	s_waitcnt vmcnt(0)
	global_atomic_add_x2 v[0:1], v[2:3], off offset:8
.LBB6_1002:
	s_or_b32 exec_lo, exec_lo, s8
	s_waitcnt vmcnt(0)
	global_load_dwordx2 v[2:3], v[0:1], off offset:16
	s_waitcnt vmcnt(0)
	v_cmp_eq_u64_e32 vcc_lo, 0, v[2:3]
	s_cbranch_vccnz .LBB6_1004
; %bb.1003:
	global_load_dword v0, v[0:1], off offset:24
	v_mov_b32_e32 v1, 0
	s_waitcnt vmcnt(0)
	v_and_b32_e32 v4, 0x7fffff, v0
	s_waitcnt_vscnt null, 0x0
	global_store_dwordx2 v[2:3], v[0:1], off
	v_readfirstlane_b32 m0, v4
	s_sendmsg sendmsg(MSG_INTERRUPT)
.LBB6_1004:
	s_or_b32 exec_lo, exec_lo, s5
	s_branch .LBB6_1008
	.p2align	6
.LBB6_1005:                             ;   in Loop: Header=BB6_1008 Depth=1
	s_or_b32 exec_lo, exec_lo, s5
	v_readfirstlane_b32 s5, v0
	s_cmp_eq_u32 s5, 0
	s_cbranch_scc1 .LBB6_1007
; %bb.1006:                             ;   in Loop: Header=BB6_1008 Depth=1
	s_sleep 1
	s_cbranch_execnz .LBB6_1008
	s_branch .LBB6_1010
	.p2align	6
.LBB6_1007:
	s_branch .LBB6_1010
.LBB6_1008:                             ; =>This Inner Loop Header: Depth=1
	v_mov_b32_e32 v0, 1
	s_and_saveexec_b32 s5, s4
	s_cbranch_execz .LBB6_1005
; %bb.1009:                             ;   in Loop: Header=BB6_1008 Depth=1
	global_load_dword v0, v[8:9], off offset:20 glc dlc
	s_waitcnt vmcnt(0)
	buffer_gl1_inv
	buffer_gl0_inv
	v_and_b32_e32 v0, 1, v0
	s_branch .LBB6_1005
.LBB6_1010:
	global_load_dwordx2 v[0:1], v[10:11], off
	s_and_saveexec_b32 s5, s4
	s_cbranch_execz .LBB6_1014
; %bb.1011:
	v_mov_b32_e32 v8, 0
	s_clause 0x2
	global_load_dwordx2 v[4:5], v8, s[38:39] offset:40
	global_load_dwordx2 v[9:10], v8, s[38:39] offset:24 glc dlc
	global_load_dwordx2 v[6:7], v8, s[38:39]
	s_waitcnt vmcnt(2)
	v_add_co_u32 v11, vcc_lo, v4, 1
	v_add_co_ci_u32_e32 v12, vcc_lo, 0, v5, vcc_lo
	v_add_co_u32 v2, vcc_lo, v11, s6
	v_add_co_ci_u32_e32 v3, vcc_lo, s7, v12, vcc_lo
	v_cmp_eq_u64_e32 vcc_lo, 0, v[2:3]
	v_cndmask_b32_e32 v3, v3, v12, vcc_lo
	v_cndmask_b32_e32 v2, v2, v11, vcc_lo
	v_and_b32_e32 v5, v3, v5
	v_and_b32_e32 v4, v2, v4
	v_mul_lo_u32 v5, v5, 24
	v_mul_hi_u32 v11, v4, 24
	v_mul_lo_u32 v4, v4, 24
	v_add_nc_u32_e32 v5, v11, v5
	s_waitcnt vmcnt(0)
	v_add_co_u32 v6, vcc_lo, v6, v4
	v_mov_b32_e32 v4, v9
	v_add_co_ci_u32_e32 v7, vcc_lo, v7, v5, vcc_lo
	v_mov_b32_e32 v5, v10
	global_store_dwordx2 v[6:7], v[9:10], off
	s_waitcnt_vscnt null, 0x0
	global_atomic_cmpswap_x2 v[4:5], v8, v[2:5], s[38:39] offset:24 glc
	s_waitcnt vmcnt(0)
	v_cmp_ne_u64_e32 vcc_lo, v[4:5], v[9:10]
	s_and_b32 exec_lo, exec_lo, vcc_lo
	s_cbranch_execz .LBB6_1014
; %bb.1012:
	s_mov_b32 s4, 0
.LBB6_1013:                             ; =>This Inner Loop Header: Depth=1
	s_sleep 1
	global_store_dwordx2 v[6:7], v[4:5], off
	s_waitcnt_vscnt null, 0x0
	global_atomic_cmpswap_x2 v[9:10], v8, v[2:5], s[38:39] offset:24 glc
	s_waitcnt vmcnt(0)
	v_cmp_eq_u64_e32 vcc_lo, v[9:10], v[4:5]
	v_mov_b32_e32 v4, v9
	v_mov_b32_e32 v5, v10
	s_or_b32 s4, vcc_lo, s4
	s_andn2_b32 exec_lo, exec_lo, s4
	s_cbranch_execnz .LBB6_1013
.LBB6_1014:
	s_or_b32 exec_lo, exec_lo, s5
	s_and_b32 vcc_lo, exec_lo, s42
	s_cbranch_vccz .LBB6_1093
; %bb.1015:
	s_waitcnt vmcnt(0)
	v_and_b32_e32 v31, 2, v0
	v_mov_b32_e32 v6, 0
	v_and_b32_e32 v2, -3, v0
	v_mov_b32_e32 v3, v1
	v_mov_b32_e32 v7, 2
	;; [unrolled: 1-line block ×3, first 2 shown]
	s_mov_b64 s[8:9], 3
	s_getpc_b64 s[6:7]
	s_add_u32 s6, s6, .str.9@rel32@lo+4
	s_addc_u32 s7, s7, .str.9@rel32@hi+12
	s_branch .LBB6_1017
.LBB6_1016:                             ;   in Loop: Header=BB6_1017 Depth=1
	s_or_b32 exec_lo, exec_lo, s5
	s_sub_u32 s8, s8, s10
	s_subb_u32 s9, s9, s11
	s_add_u32 s6, s6, s10
	s_addc_u32 s7, s7, s11
	s_cmp_lg_u64 s[8:9], 0
	s_cbranch_scc0 .LBB6_1092
.LBB6_1017:                             ; =>This Loop Header: Depth=1
                                        ;     Child Loop BB6_1026 Depth 2
                                        ;     Child Loop BB6_1022 Depth 2
	;; [unrolled: 1-line block ×11, first 2 shown]
	v_cmp_lt_u64_e64 s4, s[8:9], 56
	v_cmp_gt_u64_e64 s5, s[8:9], 7
                                        ; implicit-def: $vgpr11_vgpr12
                                        ; implicit-def: $sgpr17
	s_and_b32 s4, s4, exec_lo
	s_cselect_b32 s11, s9, 0
	s_cselect_b32 s10, s8, 56
	s_and_b32 vcc_lo, exec_lo, s5
	s_mov_b32 s4, -1
	s_cbranch_vccz .LBB6_1024
; %bb.1018:                             ;   in Loop: Header=BB6_1017 Depth=1
	s_andn2_b32 vcc_lo, exec_lo, s4
	s_mov_b64 s[4:5], s[6:7]
	s_cbranch_vccz .LBB6_1028
.LBB6_1019:                             ;   in Loop: Header=BB6_1017 Depth=1
	s_cmp_gt_u32 s17, 7
	s_cbranch_scc1 .LBB6_1029
.LBB6_1020:                             ;   in Loop: Header=BB6_1017 Depth=1
	v_mov_b32_e32 v13, 0
	v_mov_b32_e32 v14, 0
	s_cmp_eq_u32 s17, 0
	s_cbranch_scc1 .LBB6_1023
; %bb.1021:                             ;   in Loop: Header=BB6_1017 Depth=1
	s_mov_b64 s[12:13], 0
	s_mov_b64 s[14:15], 0
.LBB6_1022:                             ;   Parent Loop BB6_1017 Depth=1
                                        ; =>  This Inner Loop Header: Depth=2
	s_add_u32 s18, s4, s14
	s_addc_u32 s19, s5, s15
	s_add_u32 s14, s14, 1
	global_load_ubyte v4, v6, s[18:19]
	s_addc_u32 s15, s15, 0
	s_waitcnt vmcnt(0)
	v_and_b32_e32 v5, 0xffff, v4
	v_lshlrev_b64 v[4:5], s12, v[5:6]
	s_add_u32 s12, s12, 8
	s_addc_u32 s13, s13, 0
	s_cmp_lg_u32 s17, s14
	v_or_b32_e32 v13, v4, v13
	v_or_b32_e32 v14, v5, v14
	s_cbranch_scc1 .LBB6_1022
.LBB6_1023:                             ;   in Loop: Header=BB6_1017 Depth=1
	s_mov_b32 s18, 0
	s_cbranch_execz .LBB6_1030
	s_branch .LBB6_1031
.LBB6_1024:                             ;   in Loop: Header=BB6_1017 Depth=1
	v_mov_b32_e32 v11, 0
	v_mov_b32_e32 v12, 0
	s_cmp_eq_u64 s[8:9], 0
	s_mov_b64 s[4:5], 0
	s_cbranch_scc1 .LBB6_1027
; %bb.1025:                             ;   in Loop: Header=BB6_1017 Depth=1
	v_mov_b32_e32 v11, 0
	v_mov_b32_e32 v12, 0
	s_lshl_b64 s[12:13], s[10:11], 3
	s_mov_b64 s[14:15], s[6:7]
.LBB6_1026:                             ;   Parent Loop BB6_1017 Depth=1
                                        ; =>  This Inner Loop Header: Depth=2
	global_load_ubyte v4, v6, s[14:15]
	s_waitcnt vmcnt(0)
	v_and_b32_e32 v5, 0xffff, v4
	v_lshlrev_b64 v[4:5], s4, v[5:6]
	s_add_u32 s4, s4, 8
	s_addc_u32 s5, s5, 0
	s_add_u32 s14, s14, 1
	s_addc_u32 s15, s15, 0
	s_cmp_lg_u32 s12, s4
	v_or_b32_e32 v11, v4, v11
	v_or_b32_e32 v12, v5, v12
	s_cbranch_scc1 .LBB6_1026
.LBB6_1027:                             ;   in Loop: Header=BB6_1017 Depth=1
	s_mov_b32 s17, 0
	s_mov_b64 s[4:5], s[6:7]
	s_cbranch_execnz .LBB6_1019
.LBB6_1028:                             ;   in Loop: Header=BB6_1017 Depth=1
	global_load_dwordx2 v[11:12], v6, s[6:7]
	s_add_i32 s17, s10, -8
	s_add_u32 s4, s6, 8
	s_addc_u32 s5, s7, 0
	s_cmp_gt_u32 s17, 7
	s_cbranch_scc0 .LBB6_1020
.LBB6_1029:                             ;   in Loop: Header=BB6_1017 Depth=1
                                        ; implicit-def: $vgpr13_vgpr14
                                        ; implicit-def: $sgpr18
.LBB6_1030:                             ;   in Loop: Header=BB6_1017 Depth=1
	global_load_dwordx2 v[13:14], v6, s[4:5]
	s_add_i32 s18, s17, -8
	s_add_u32 s4, s4, 8
	s_addc_u32 s5, s5, 0
.LBB6_1031:                             ;   in Loop: Header=BB6_1017 Depth=1
	s_cmp_gt_u32 s18, 7
	s_cbranch_scc1 .LBB6_1036
; %bb.1032:                             ;   in Loop: Header=BB6_1017 Depth=1
	v_mov_b32_e32 v15, 0
	v_mov_b32_e32 v16, 0
	s_cmp_eq_u32 s18, 0
	s_cbranch_scc1 .LBB6_1035
; %bb.1033:                             ;   in Loop: Header=BB6_1017 Depth=1
	s_mov_b64 s[12:13], 0
	s_mov_b64 s[14:15], 0
.LBB6_1034:                             ;   Parent Loop BB6_1017 Depth=1
                                        ; =>  This Inner Loop Header: Depth=2
	s_add_u32 s20, s4, s14
	s_addc_u32 s21, s5, s15
	s_add_u32 s14, s14, 1
	global_load_ubyte v4, v6, s[20:21]
	s_addc_u32 s15, s15, 0
	s_waitcnt vmcnt(0)
	v_and_b32_e32 v5, 0xffff, v4
	v_lshlrev_b64 v[4:5], s12, v[5:6]
	s_add_u32 s12, s12, 8
	s_addc_u32 s13, s13, 0
	s_cmp_lg_u32 s18, s14
	v_or_b32_e32 v15, v4, v15
	v_or_b32_e32 v16, v5, v16
	s_cbranch_scc1 .LBB6_1034
.LBB6_1035:                             ;   in Loop: Header=BB6_1017 Depth=1
	s_mov_b32 s17, 0
	s_cbranch_execz .LBB6_1037
	s_branch .LBB6_1038
.LBB6_1036:                             ;   in Loop: Header=BB6_1017 Depth=1
                                        ; implicit-def: $sgpr17
.LBB6_1037:                             ;   in Loop: Header=BB6_1017 Depth=1
	global_load_dwordx2 v[15:16], v6, s[4:5]
	s_add_i32 s17, s18, -8
	s_add_u32 s4, s4, 8
	s_addc_u32 s5, s5, 0
.LBB6_1038:                             ;   in Loop: Header=BB6_1017 Depth=1
	s_cmp_gt_u32 s17, 7
	s_cbranch_scc1 .LBB6_1043
; %bb.1039:                             ;   in Loop: Header=BB6_1017 Depth=1
	v_mov_b32_e32 v17, 0
	v_mov_b32_e32 v18, 0
	s_cmp_eq_u32 s17, 0
	s_cbranch_scc1 .LBB6_1042
; %bb.1040:                             ;   in Loop: Header=BB6_1017 Depth=1
	s_mov_b64 s[12:13], 0
	s_mov_b64 s[14:15], 0
.LBB6_1041:                             ;   Parent Loop BB6_1017 Depth=1
                                        ; =>  This Inner Loop Header: Depth=2
	s_add_u32 s18, s4, s14
	s_addc_u32 s19, s5, s15
	s_add_u32 s14, s14, 1
	global_load_ubyte v4, v6, s[18:19]
	s_addc_u32 s15, s15, 0
	s_waitcnt vmcnt(0)
	v_and_b32_e32 v5, 0xffff, v4
	v_lshlrev_b64 v[4:5], s12, v[5:6]
	s_add_u32 s12, s12, 8
	s_addc_u32 s13, s13, 0
	s_cmp_lg_u32 s17, s14
	v_or_b32_e32 v17, v4, v17
	v_or_b32_e32 v18, v5, v18
	s_cbranch_scc1 .LBB6_1041
.LBB6_1042:                             ;   in Loop: Header=BB6_1017 Depth=1
	s_mov_b32 s18, 0
	s_cbranch_execz .LBB6_1044
	s_branch .LBB6_1045
.LBB6_1043:                             ;   in Loop: Header=BB6_1017 Depth=1
                                        ; implicit-def: $vgpr17_vgpr18
                                        ; implicit-def: $sgpr18
.LBB6_1044:                             ;   in Loop: Header=BB6_1017 Depth=1
	global_load_dwordx2 v[17:18], v6, s[4:5]
	s_add_i32 s18, s17, -8
	s_add_u32 s4, s4, 8
	s_addc_u32 s5, s5, 0
.LBB6_1045:                             ;   in Loop: Header=BB6_1017 Depth=1
	s_cmp_gt_u32 s18, 7
	s_cbranch_scc1 .LBB6_1050
; %bb.1046:                             ;   in Loop: Header=BB6_1017 Depth=1
	v_mov_b32_e32 v19, 0
	v_mov_b32_e32 v20, 0
	s_cmp_eq_u32 s18, 0
	s_cbranch_scc1 .LBB6_1049
; %bb.1047:                             ;   in Loop: Header=BB6_1017 Depth=1
	s_mov_b64 s[12:13], 0
	s_mov_b64 s[14:15], 0
.LBB6_1048:                             ;   Parent Loop BB6_1017 Depth=1
                                        ; =>  This Inner Loop Header: Depth=2
	s_add_u32 s20, s4, s14
	s_addc_u32 s21, s5, s15
	s_add_u32 s14, s14, 1
	global_load_ubyte v4, v6, s[20:21]
	s_addc_u32 s15, s15, 0
	s_waitcnt vmcnt(0)
	v_and_b32_e32 v5, 0xffff, v4
	v_lshlrev_b64 v[4:5], s12, v[5:6]
	s_add_u32 s12, s12, 8
	s_addc_u32 s13, s13, 0
	s_cmp_lg_u32 s18, s14
	v_or_b32_e32 v19, v4, v19
	v_or_b32_e32 v20, v5, v20
	s_cbranch_scc1 .LBB6_1048
.LBB6_1049:                             ;   in Loop: Header=BB6_1017 Depth=1
	s_mov_b32 s17, 0
	s_cbranch_execz .LBB6_1051
	s_branch .LBB6_1052
.LBB6_1050:                             ;   in Loop: Header=BB6_1017 Depth=1
                                        ; implicit-def: $sgpr17
.LBB6_1051:                             ;   in Loop: Header=BB6_1017 Depth=1
	global_load_dwordx2 v[19:20], v6, s[4:5]
	s_add_i32 s17, s18, -8
	s_add_u32 s4, s4, 8
	s_addc_u32 s5, s5, 0
.LBB6_1052:                             ;   in Loop: Header=BB6_1017 Depth=1
	s_cmp_gt_u32 s17, 7
	s_cbranch_scc1 .LBB6_1057
; %bb.1053:                             ;   in Loop: Header=BB6_1017 Depth=1
	v_mov_b32_e32 v21, 0
	v_mov_b32_e32 v22, 0
	s_cmp_eq_u32 s17, 0
	s_cbranch_scc1 .LBB6_1056
; %bb.1054:                             ;   in Loop: Header=BB6_1017 Depth=1
	s_mov_b64 s[12:13], 0
	s_mov_b64 s[14:15], 0
.LBB6_1055:                             ;   Parent Loop BB6_1017 Depth=1
                                        ; =>  This Inner Loop Header: Depth=2
	s_add_u32 s18, s4, s14
	s_addc_u32 s19, s5, s15
	s_add_u32 s14, s14, 1
	global_load_ubyte v4, v6, s[18:19]
	s_addc_u32 s15, s15, 0
	s_waitcnt vmcnt(0)
	v_and_b32_e32 v5, 0xffff, v4
	v_lshlrev_b64 v[4:5], s12, v[5:6]
	s_add_u32 s12, s12, 8
	s_addc_u32 s13, s13, 0
	s_cmp_lg_u32 s17, s14
	v_or_b32_e32 v21, v4, v21
	v_or_b32_e32 v22, v5, v22
	s_cbranch_scc1 .LBB6_1055
.LBB6_1056:                             ;   in Loop: Header=BB6_1017 Depth=1
	s_mov_b32 s18, 0
	s_cbranch_execz .LBB6_1058
	s_branch .LBB6_1059
.LBB6_1057:                             ;   in Loop: Header=BB6_1017 Depth=1
                                        ; implicit-def: $vgpr21_vgpr22
                                        ; implicit-def: $sgpr18
.LBB6_1058:                             ;   in Loop: Header=BB6_1017 Depth=1
	global_load_dwordx2 v[21:22], v6, s[4:5]
	s_add_i32 s18, s17, -8
	s_add_u32 s4, s4, 8
	s_addc_u32 s5, s5, 0
.LBB6_1059:                             ;   in Loop: Header=BB6_1017 Depth=1
	s_cmp_gt_u32 s18, 7
	s_cbranch_scc1 .LBB6_1064
; %bb.1060:                             ;   in Loop: Header=BB6_1017 Depth=1
	v_mov_b32_e32 v23, 0
	v_mov_b32_e32 v24, 0
	s_cmp_eq_u32 s18, 0
	s_cbranch_scc1 .LBB6_1063
; %bb.1061:                             ;   in Loop: Header=BB6_1017 Depth=1
	s_mov_b64 s[12:13], 0
	s_mov_b64 s[14:15], s[4:5]
.LBB6_1062:                             ;   Parent Loop BB6_1017 Depth=1
                                        ; =>  This Inner Loop Header: Depth=2
	global_load_ubyte v4, v6, s[14:15]
	s_add_i32 s18, s18, -1
	s_waitcnt vmcnt(0)
	v_and_b32_e32 v5, 0xffff, v4
	v_lshlrev_b64 v[4:5], s12, v[5:6]
	s_add_u32 s12, s12, 8
	s_addc_u32 s13, s13, 0
	s_add_u32 s14, s14, 1
	s_addc_u32 s15, s15, 0
	s_cmp_lg_u32 s18, 0
	v_or_b32_e32 v23, v4, v23
	v_or_b32_e32 v24, v5, v24
	s_cbranch_scc1 .LBB6_1062
.LBB6_1063:                             ;   in Loop: Header=BB6_1017 Depth=1
	s_cbranch_execz .LBB6_1065
	s_branch .LBB6_1066
.LBB6_1064:                             ;   in Loop: Header=BB6_1017 Depth=1
.LBB6_1065:                             ;   in Loop: Header=BB6_1017 Depth=1
	global_load_dwordx2 v[23:24], v6, s[4:5]
.LBB6_1066:                             ;   in Loop: Header=BB6_1017 Depth=1
	v_readfirstlane_b32 s4, v42
	s_waitcnt vmcnt(0)
	v_mov_b32_e32 v4, 0
	v_mov_b32_e32 v5, 0
	v_cmp_eq_u32_e64 s4, s4, v42
	s_and_saveexec_b32 s5, s4
	s_cbranch_execz .LBB6_1072
; %bb.1067:                             ;   in Loop: Header=BB6_1017 Depth=1
	global_load_dwordx2 v[27:28], v6, s[38:39] offset:24 glc dlc
	s_waitcnt vmcnt(0)
	buffer_gl1_inv
	buffer_gl0_inv
	s_clause 0x1
	global_load_dwordx2 v[4:5], v6, s[38:39] offset:40
	global_load_dwordx2 v[9:10], v6, s[38:39]
	s_mov_b32 s12, exec_lo
	s_waitcnt vmcnt(1)
	v_and_b32_e32 v5, v5, v28
	v_and_b32_e32 v4, v4, v27
	v_mul_lo_u32 v5, v5, 24
	v_mul_hi_u32 v25, v4, 24
	v_mul_lo_u32 v4, v4, 24
	v_add_nc_u32_e32 v5, v25, v5
	s_waitcnt vmcnt(0)
	v_add_co_u32 v4, vcc_lo, v9, v4
	v_add_co_ci_u32_e32 v5, vcc_lo, v10, v5, vcc_lo
	global_load_dwordx2 v[25:26], v[4:5], off glc dlc
	s_waitcnt vmcnt(0)
	global_atomic_cmpswap_x2 v[4:5], v6, v[25:28], s[38:39] offset:24 glc
	s_waitcnt vmcnt(0)
	buffer_gl1_inv
	buffer_gl0_inv
	v_cmpx_ne_u64_e64 v[4:5], v[27:28]
	s_cbranch_execz .LBB6_1071
; %bb.1068:                             ;   in Loop: Header=BB6_1017 Depth=1
	s_mov_b32 s13, 0
	.p2align	6
.LBB6_1069:                             ;   Parent Loop BB6_1017 Depth=1
                                        ; =>  This Inner Loop Header: Depth=2
	s_sleep 1
	s_clause 0x1
	global_load_dwordx2 v[9:10], v6, s[38:39] offset:40
	global_load_dwordx2 v[25:26], v6, s[38:39]
	v_mov_b32_e32 v28, v5
	v_mov_b32_e32 v27, v4
	s_waitcnt vmcnt(1)
	v_and_b32_e32 v4, v9, v27
	v_and_b32_e32 v9, v10, v28
	s_waitcnt vmcnt(0)
	v_mad_u64_u32 v[4:5], null, v4, 24, v[25:26]
	v_mad_u64_u32 v[9:10], null, v9, 24, v[5:6]
	v_mov_b32_e32 v5, v9
	global_load_dwordx2 v[25:26], v[4:5], off glc dlc
	s_waitcnt vmcnt(0)
	global_atomic_cmpswap_x2 v[4:5], v6, v[25:28], s[38:39] offset:24 glc
	s_waitcnt vmcnt(0)
	buffer_gl1_inv
	buffer_gl0_inv
	v_cmp_eq_u64_e32 vcc_lo, v[4:5], v[27:28]
	s_or_b32 s13, vcc_lo, s13
	s_andn2_b32 exec_lo, exec_lo, s13
	s_cbranch_execnz .LBB6_1069
; %bb.1070:                             ;   in Loop: Header=BB6_1017 Depth=1
	s_or_b32 exec_lo, exec_lo, s13
.LBB6_1071:                             ;   in Loop: Header=BB6_1017 Depth=1
	s_or_b32 exec_lo, exec_lo, s12
.LBB6_1072:                             ;   in Loop: Header=BB6_1017 Depth=1
	s_or_b32 exec_lo, exec_lo, s5
	s_clause 0x1
	global_load_dwordx2 v[9:10], v6, s[38:39] offset:40
	global_load_dwordx4 v[25:28], v6, s[38:39]
	v_readfirstlane_b32 s12, v4
	v_readfirstlane_b32 s13, v5
	s_mov_b32 s5, exec_lo
	s_waitcnt vmcnt(1)
	v_readfirstlane_b32 s14, v9
	v_readfirstlane_b32 s15, v10
	s_and_b64 s[14:15], s[12:13], s[14:15]
	s_mul_i32 s17, s15, 24
	s_mul_hi_u32 s18, s14, 24
	s_mul_i32 s19, s14, 24
	s_add_i32 s18, s18, s17
	s_waitcnt vmcnt(0)
	v_add_co_u32 v29, vcc_lo, v25, s19
	v_add_co_ci_u32_e32 v30, vcc_lo, s18, v26, vcc_lo
	s_and_saveexec_b32 s17, s4
	s_cbranch_execz .LBB6_1074
; %bb.1073:                             ;   in Loop: Header=BB6_1017 Depth=1
	v_mov_b32_e32 v5, s5
	global_store_dwordx4 v[29:30], v[5:8], off offset:8
.LBB6_1074:                             ;   in Loop: Header=BB6_1017 Depth=1
	s_or_b32 exec_lo, exec_lo, s17
	s_lshl_b64 s[14:15], s[14:15], 12
	v_cmp_gt_u64_e64 vcc_lo, s[8:9], 56
	v_or_b32_e32 v5, v2, v31
	v_add_co_u32 v27, s5, v27, s14
	v_add_co_ci_u32_e64 v28, s5, s15, v28, s5
	s_lshl_b32 s5, s10, 2
	v_or_b32_e32 v4, 0, v3
	v_cndmask_b32_e32 v2, v5, v2, vcc_lo
	s_add_i32 s5, s5, 28
	v_readfirstlane_b32 s14, v27
	s_and_b32 s5, s5, 0x1e0
	v_cndmask_b32_e32 v10, v4, v3, vcc_lo
	v_readfirstlane_b32 s15, v28
	v_and_or_b32 v9, 0xffffff1f, v2, s5
	global_store_dwordx4 v41, v[9:12], s[14:15]
	global_store_dwordx4 v41, v[13:16], s[14:15] offset:16
	global_store_dwordx4 v41, v[17:20], s[14:15] offset:32
	;; [unrolled: 1-line block ×3, first 2 shown]
	s_and_saveexec_b32 s5, s4
	s_cbranch_execz .LBB6_1082
; %bb.1075:                             ;   in Loop: Header=BB6_1017 Depth=1
	s_clause 0x1
	global_load_dwordx2 v[13:14], v6, s[38:39] offset:32 glc dlc
	global_load_dwordx2 v[2:3], v6, s[38:39] offset:40
	v_mov_b32_e32 v11, s12
	v_mov_b32_e32 v12, s13
	s_waitcnt vmcnt(0)
	v_readfirstlane_b32 s14, v2
	v_readfirstlane_b32 s15, v3
	s_and_b64 s[14:15], s[14:15], s[12:13]
	s_mul_i32 s15, s15, 24
	s_mul_hi_u32 s17, s14, 24
	s_mul_i32 s14, s14, 24
	s_add_i32 s17, s17, s15
	v_add_co_u32 v9, vcc_lo, v25, s14
	v_add_co_ci_u32_e32 v10, vcc_lo, s17, v26, vcc_lo
	s_mov_b32 s14, exec_lo
	global_store_dwordx2 v[9:10], v[13:14], off
	s_waitcnt_vscnt null, 0x0
	global_atomic_cmpswap_x2 v[4:5], v6, v[11:14], s[38:39] offset:32 glc
	s_waitcnt vmcnt(0)
	v_cmpx_ne_u64_e64 v[4:5], v[13:14]
	s_cbranch_execz .LBB6_1078
; %bb.1076:                             ;   in Loop: Header=BB6_1017 Depth=1
	s_mov_b32 s15, 0
.LBB6_1077:                             ;   Parent Loop BB6_1017 Depth=1
                                        ; =>  This Inner Loop Header: Depth=2
	v_mov_b32_e32 v2, s12
	v_mov_b32_e32 v3, s13
	s_sleep 1
	global_store_dwordx2 v[9:10], v[4:5], off
	s_waitcnt_vscnt null, 0x0
	global_atomic_cmpswap_x2 v[2:3], v6, v[2:5], s[38:39] offset:32 glc
	s_waitcnt vmcnt(0)
	v_cmp_eq_u64_e32 vcc_lo, v[2:3], v[4:5]
	v_mov_b32_e32 v5, v3
	v_mov_b32_e32 v4, v2
	s_or_b32 s15, vcc_lo, s15
	s_andn2_b32 exec_lo, exec_lo, s15
	s_cbranch_execnz .LBB6_1077
.LBB6_1078:                             ;   in Loop: Header=BB6_1017 Depth=1
	s_or_b32 exec_lo, exec_lo, s14
	global_load_dwordx2 v[2:3], v6, s[38:39] offset:16
	s_mov_b32 s15, exec_lo
	s_mov_b32 s14, exec_lo
	v_mbcnt_lo_u32_b32 v4, s15, 0
	v_cmpx_eq_u32_e32 0, v4
	s_cbranch_execz .LBB6_1080
; %bb.1079:                             ;   in Loop: Header=BB6_1017 Depth=1
	s_bcnt1_i32_b32 s15, s15
	v_mov_b32_e32 v5, s15
	s_waitcnt vmcnt(0)
	global_atomic_add_x2 v[2:3], v[5:6], off offset:8
.LBB6_1080:                             ;   in Loop: Header=BB6_1017 Depth=1
	s_or_b32 exec_lo, exec_lo, s14
	s_waitcnt vmcnt(0)
	global_load_dwordx2 v[9:10], v[2:3], off offset:16
	s_waitcnt vmcnt(0)
	v_cmp_eq_u64_e32 vcc_lo, 0, v[9:10]
	s_cbranch_vccnz .LBB6_1082
; %bb.1081:                             ;   in Loop: Header=BB6_1017 Depth=1
	global_load_dword v5, v[2:3], off offset:24
	s_waitcnt vmcnt(0)
	v_and_b32_e32 v2, 0x7fffff, v5
	s_waitcnt_vscnt null, 0x0
	global_store_dwordx2 v[9:10], v[5:6], off
	v_readfirstlane_b32 m0, v2
	s_sendmsg sendmsg(MSG_INTERRUPT)
.LBB6_1082:                             ;   in Loop: Header=BB6_1017 Depth=1
	s_or_b32 exec_lo, exec_lo, s5
	v_add_co_u32 v2, vcc_lo, v27, v41
	v_add_co_ci_u32_e32 v3, vcc_lo, 0, v28, vcc_lo
	s_branch .LBB6_1086
	.p2align	6
.LBB6_1083:                             ;   in Loop: Header=BB6_1086 Depth=2
	s_or_b32 exec_lo, exec_lo, s5
	v_readfirstlane_b32 s5, v4
	s_cmp_eq_u32 s5, 0
	s_cbranch_scc1 .LBB6_1085
; %bb.1084:                             ;   in Loop: Header=BB6_1086 Depth=2
	s_sleep 1
	s_cbranch_execnz .LBB6_1086
	s_branch .LBB6_1088
	.p2align	6
.LBB6_1085:                             ;   in Loop: Header=BB6_1017 Depth=1
	s_branch .LBB6_1088
.LBB6_1086:                             ;   Parent Loop BB6_1017 Depth=1
                                        ; =>  This Inner Loop Header: Depth=2
	v_mov_b32_e32 v4, 1
	s_and_saveexec_b32 s5, s4
	s_cbranch_execz .LBB6_1083
; %bb.1087:                             ;   in Loop: Header=BB6_1086 Depth=2
	global_load_dword v4, v[29:30], off offset:20 glc dlc
	s_waitcnt vmcnt(0)
	buffer_gl1_inv
	buffer_gl0_inv
	v_and_b32_e32 v4, 1, v4
	s_branch .LBB6_1083
.LBB6_1088:                             ;   in Loop: Header=BB6_1017 Depth=1
	global_load_dwordx4 v[2:5], v[2:3], off
	s_and_saveexec_b32 s5, s4
	s_cbranch_execz .LBB6_1016
; %bb.1089:                             ;   in Loop: Header=BB6_1017 Depth=1
	s_clause 0x2
	global_load_dwordx2 v[4:5], v6, s[38:39] offset:40
	global_load_dwordx2 v[13:14], v6, s[38:39] offset:24 glc dlc
	global_load_dwordx2 v[11:12], v6, s[38:39]
	s_waitcnt vmcnt(2)
	v_add_co_u32 v15, vcc_lo, v4, 1
	v_add_co_ci_u32_e32 v16, vcc_lo, 0, v5, vcc_lo
	v_add_co_u32 v9, vcc_lo, v15, s12
	v_add_co_ci_u32_e32 v10, vcc_lo, s13, v16, vcc_lo
	v_cmp_eq_u64_e32 vcc_lo, 0, v[9:10]
	v_cndmask_b32_e32 v10, v10, v16, vcc_lo
	v_cndmask_b32_e32 v9, v9, v15, vcc_lo
	v_and_b32_e32 v5, v10, v5
	v_and_b32_e32 v4, v9, v4
	v_mul_lo_u32 v5, v5, 24
	v_mul_hi_u32 v15, v4, 24
	v_mul_lo_u32 v4, v4, 24
	v_add_nc_u32_e32 v5, v15, v5
	s_waitcnt vmcnt(0)
	v_add_co_u32 v4, vcc_lo, v11, v4
	v_mov_b32_e32 v11, v13
	v_add_co_ci_u32_e32 v5, vcc_lo, v12, v5, vcc_lo
	v_mov_b32_e32 v12, v14
	global_store_dwordx2 v[4:5], v[13:14], off
	s_waitcnt_vscnt null, 0x0
	global_atomic_cmpswap_x2 v[11:12], v6, v[9:12], s[38:39] offset:24 glc
	s_waitcnt vmcnt(0)
	v_cmp_ne_u64_e32 vcc_lo, v[11:12], v[13:14]
	s_and_b32 exec_lo, exec_lo, vcc_lo
	s_cbranch_execz .LBB6_1016
; %bb.1090:                             ;   in Loop: Header=BB6_1017 Depth=1
	s_mov_b32 s4, 0
.LBB6_1091:                             ;   Parent Loop BB6_1017 Depth=1
                                        ; =>  This Inner Loop Header: Depth=2
	s_sleep 1
	global_store_dwordx2 v[4:5], v[11:12], off
	s_waitcnt_vscnt null, 0x0
	global_atomic_cmpswap_x2 v[13:14], v6, v[9:12], s[38:39] offset:24 glc
	s_waitcnt vmcnt(0)
	v_cmp_eq_u64_e32 vcc_lo, v[13:14], v[11:12]
	v_mov_b32_e32 v11, v13
	v_mov_b32_e32 v12, v14
	s_or_b32 s4, vcc_lo, s4
	s_andn2_b32 exec_lo, exec_lo, s4
	s_cbranch_execnz .LBB6_1091
	s_branch .LBB6_1016
.LBB6_1092:
	s_mov_b32 s4, 0
	s_branch .LBB6_1094
.LBB6_1093:
	s_mov_b32 s4, -1
                                        ; implicit-def: $vgpr2_vgpr3
.LBB6_1094:
	s_and_b32 vcc_lo, exec_lo, s4
	s_cbranch_vccz .LBB6_1122
; %bb.1095:
	v_readfirstlane_b32 s4, v42
	v_mov_b32_e32 v8, 0
	v_mov_b32_e32 v9, 0
	v_cmp_eq_u32_e64 s4, s4, v42
	s_and_saveexec_b32 s5, s4
	s_cbranch_execz .LBB6_1101
; %bb.1096:
	s_waitcnt vmcnt(0)
	v_mov_b32_e32 v2, 0
	s_mov_b32 s6, exec_lo
	global_load_dwordx2 v[5:6], v2, s[38:39] offset:24 glc dlc
	s_waitcnt vmcnt(0)
	buffer_gl1_inv
	buffer_gl0_inv
	s_clause 0x1
	global_load_dwordx2 v[3:4], v2, s[38:39] offset:40
	global_load_dwordx2 v[7:8], v2, s[38:39]
	s_waitcnt vmcnt(1)
	v_and_b32_e32 v4, v4, v6
	v_and_b32_e32 v3, v3, v5
	v_mul_lo_u32 v4, v4, 24
	v_mul_hi_u32 v9, v3, 24
	v_mul_lo_u32 v3, v3, 24
	v_add_nc_u32_e32 v4, v9, v4
	s_waitcnt vmcnt(0)
	v_add_co_u32 v3, vcc_lo, v7, v3
	v_add_co_ci_u32_e32 v4, vcc_lo, v8, v4, vcc_lo
	global_load_dwordx2 v[3:4], v[3:4], off glc dlc
	s_waitcnt vmcnt(0)
	global_atomic_cmpswap_x2 v[8:9], v2, v[3:6], s[38:39] offset:24 glc
	s_waitcnt vmcnt(0)
	buffer_gl1_inv
	buffer_gl0_inv
	v_cmpx_ne_u64_e64 v[8:9], v[5:6]
	s_cbranch_execz .LBB6_1100
; %bb.1097:
	s_mov_b32 s7, 0
.LBB6_1098:                             ; =>This Inner Loop Header: Depth=1
	s_sleep 1
	s_clause 0x1
	global_load_dwordx2 v[3:4], v2, s[38:39] offset:40
	global_load_dwordx2 v[10:11], v2, s[38:39]
	v_mov_b32_e32 v5, v8
	v_mov_b32_e32 v6, v9
	s_waitcnt vmcnt(1)
	v_and_b32_e32 v3, v3, v5
	v_and_b32_e32 v4, v4, v6
	s_waitcnt vmcnt(0)
	v_mad_u64_u32 v[7:8], null, v3, 24, v[10:11]
	v_mov_b32_e32 v3, v8
	v_mad_u64_u32 v[3:4], null, v4, 24, v[3:4]
	v_mov_b32_e32 v8, v3
	global_load_dwordx2 v[3:4], v[7:8], off glc dlc
	s_waitcnt vmcnt(0)
	global_atomic_cmpswap_x2 v[8:9], v2, v[3:6], s[38:39] offset:24 glc
	s_waitcnt vmcnt(0)
	buffer_gl1_inv
	buffer_gl0_inv
	v_cmp_eq_u64_e32 vcc_lo, v[8:9], v[5:6]
	s_or_b32 s7, vcc_lo, s7
	s_andn2_b32 exec_lo, exec_lo, s7
	s_cbranch_execnz .LBB6_1098
; %bb.1099:
	s_or_b32 exec_lo, exec_lo, s7
.LBB6_1100:
	s_or_b32 exec_lo, exec_lo, s6
.LBB6_1101:
	s_or_b32 exec_lo, exec_lo, s5
	s_waitcnt vmcnt(0)
	v_mov_b32_e32 v2, 0
	v_readfirstlane_b32 s6, v8
	v_readfirstlane_b32 s7, v9
	s_mov_b32 s5, exec_lo
	s_clause 0x1
	global_load_dwordx2 v[10:11], v2, s[38:39] offset:40
	global_load_dwordx4 v[4:7], v2, s[38:39]
	s_waitcnt vmcnt(1)
	v_readfirstlane_b32 s8, v10
	v_readfirstlane_b32 s9, v11
	s_and_b64 s[8:9], s[6:7], s[8:9]
	s_mul_i32 s10, s9, 24
	s_mul_hi_u32 s11, s8, 24
	s_mul_i32 s12, s8, 24
	s_add_i32 s11, s11, s10
	s_waitcnt vmcnt(0)
	v_add_co_u32 v8, vcc_lo, v4, s12
	v_add_co_ci_u32_e32 v9, vcc_lo, s11, v5, vcc_lo
	s_and_saveexec_b32 s10, s4
	s_cbranch_execz .LBB6_1103
; %bb.1102:
	v_mov_b32_e32 v10, s5
	v_mov_b32_e32 v11, v2
	;; [unrolled: 1-line block ×4, first 2 shown]
	global_store_dwordx4 v[8:9], v[10:13], off offset:8
.LBB6_1103:
	s_or_b32 exec_lo, exec_lo, s10
	s_lshl_b64 s[8:9], s[8:9], 12
	v_and_or_b32 v0, 0xffffff1f, v0, 32
	v_add_co_u32 v6, vcc_lo, v6, s8
	v_add_co_ci_u32_e32 v7, vcc_lo, s9, v7, vcc_lo
	s_mov_b32 s8, 0
	v_readfirstlane_b32 s12, v6
	s_mov_b32 s11, s8
	v_add_co_u32 v6, vcc_lo, v6, v41
	s_mov_b32 s9, s8
	s_mov_b32 s10, s8
	v_mov_b32_e32 v3, v2
	v_readfirstlane_b32 s13, v7
	v_mov_b32_e32 v13, s11
	v_add_co_ci_u32_e32 v7, vcc_lo, 0, v7, vcc_lo
	v_mov_b32_e32 v12, s10
	v_mov_b32_e32 v11, s9
	;; [unrolled: 1-line block ×3, first 2 shown]
	global_store_dwordx4 v41, v[0:3], s[12:13]
	global_store_dwordx4 v41, v[10:13], s[12:13] offset:16
	global_store_dwordx4 v41, v[10:13], s[12:13] offset:32
	;; [unrolled: 1-line block ×3, first 2 shown]
	s_and_saveexec_b32 s5, s4
	s_cbranch_execz .LBB6_1111
; %bb.1104:
	v_mov_b32_e32 v10, 0
	v_mov_b32_e32 v11, s6
	;; [unrolled: 1-line block ×3, first 2 shown]
	s_clause 0x1
	global_load_dwordx2 v[13:14], v10, s[38:39] offset:32 glc dlc
	global_load_dwordx2 v[0:1], v10, s[38:39] offset:40
	s_waitcnt vmcnt(0)
	v_readfirstlane_b32 s8, v0
	v_readfirstlane_b32 s9, v1
	s_and_b64 s[8:9], s[8:9], s[6:7]
	s_mul_i32 s9, s9, 24
	s_mul_hi_u32 s10, s8, 24
	s_mul_i32 s8, s8, 24
	s_add_i32 s10, s10, s9
	v_add_co_u32 v4, vcc_lo, v4, s8
	v_add_co_ci_u32_e32 v5, vcc_lo, s10, v5, vcc_lo
	s_mov_b32 s8, exec_lo
	global_store_dwordx2 v[4:5], v[13:14], off
	s_waitcnt_vscnt null, 0x0
	global_atomic_cmpswap_x2 v[2:3], v10, v[11:14], s[38:39] offset:32 glc
	s_waitcnt vmcnt(0)
	v_cmpx_ne_u64_e64 v[2:3], v[13:14]
	s_cbranch_execz .LBB6_1107
; %bb.1105:
	s_mov_b32 s9, 0
.LBB6_1106:                             ; =>This Inner Loop Header: Depth=1
	v_mov_b32_e32 v0, s6
	v_mov_b32_e32 v1, s7
	s_sleep 1
	global_store_dwordx2 v[4:5], v[2:3], off
	s_waitcnt_vscnt null, 0x0
	global_atomic_cmpswap_x2 v[0:1], v10, v[0:3], s[38:39] offset:32 glc
	s_waitcnt vmcnt(0)
	v_cmp_eq_u64_e32 vcc_lo, v[0:1], v[2:3]
	v_mov_b32_e32 v3, v1
	v_mov_b32_e32 v2, v0
	s_or_b32 s9, vcc_lo, s9
	s_andn2_b32 exec_lo, exec_lo, s9
	s_cbranch_execnz .LBB6_1106
.LBB6_1107:
	s_or_b32 exec_lo, exec_lo, s8
	v_mov_b32_e32 v3, 0
	s_mov_b32 s9, exec_lo
	s_mov_b32 s8, exec_lo
	v_mbcnt_lo_u32_b32 v2, s9, 0
	global_load_dwordx2 v[0:1], v3, s[38:39] offset:16
	v_cmpx_eq_u32_e32 0, v2
	s_cbranch_execz .LBB6_1109
; %bb.1108:
	s_bcnt1_i32_b32 s9, s9
	v_mov_b32_e32 v2, s9
	s_waitcnt vmcnt(0)
	global_atomic_add_x2 v[0:1], v[2:3], off offset:8
.LBB6_1109:
	s_or_b32 exec_lo, exec_lo, s8
	s_waitcnt vmcnt(0)
	global_load_dwordx2 v[2:3], v[0:1], off offset:16
	s_waitcnt vmcnt(0)
	v_cmp_eq_u64_e32 vcc_lo, 0, v[2:3]
	s_cbranch_vccnz .LBB6_1111
; %bb.1110:
	global_load_dword v0, v[0:1], off offset:24
	v_mov_b32_e32 v1, 0
	s_waitcnt vmcnt(0)
	v_and_b32_e32 v4, 0x7fffff, v0
	s_waitcnt_vscnt null, 0x0
	global_store_dwordx2 v[2:3], v[0:1], off
	v_readfirstlane_b32 m0, v4
	s_sendmsg sendmsg(MSG_INTERRUPT)
.LBB6_1111:
	s_or_b32 exec_lo, exec_lo, s5
	s_branch .LBB6_1115
	.p2align	6
.LBB6_1112:                             ;   in Loop: Header=BB6_1115 Depth=1
	s_or_b32 exec_lo, exec_lo, s5
	v_readfirstlane_b32 s5, v0
	s_cmp_eq_u32 s5, 0
	s_cbranch_scc1 .LBB6_1114
; %bb.1113:                             ;   in Loop: Header=BB6_1115 Depth=1
	s_sleep 1
	s_cbranch_execnz .LBB6_1115
	s_branch .LBB6_1117
.LBB6_1114:
	s_branch .LBB6_1117
.LBB6_1115:                             ; =>This Inner Loop Header: Depth=1
	v_mov_b32_e32 v0, 1
	s_and_saveexec_b32 s5, s4
	s_cbranch_execz .LBB6_1112
; %bb.1116:                             ;   in Loop: Header=BB6_1115 Depth=1
	global_load_dword v0, v[8:9], off offset:20 glc dlc
	s_waitcnt vmcnt(0)
	buffer_gl1_inv
	buffer_gl0_inv
	v_and_b32_e32 v0, 1, v0
	s_branch .LBB6_1112
.LBB6_1117:
	global_load_dwordx2 v[2:3], v[6:7], off
	s_and_saveexec_b32 s5, s4
	s_cbranch_execz .LBB6_1121
; %bb.1118:
	v_mov_b32_e32 v8, 0
	s_clause 0x2
	global_load_dwordx2 v[0:1], v8, s[38:39] offset:40
	global_load_dwordx2 v[9:10], v8, s[38:39] offset:24 glc dlc
	global_load_dwordx2 v[6:7], v8, s[38:39]
	s_waitcnt vmcnt(2)
	v_add_co_u32 v11, vcc_lo, v0, 1
	v_add_co_ci_u32_e32 v12, vcc_lo, 0, v1, vcc_lo
	v_add_co_u32 v4, vcc_lo, v11, s6
	v_add_co_ci_u32_e32 v5, vcc_lo, s7, v12, vcc_lo
	v_cmp_eq_u64_e32 vcc_lo, 0, v[4:5]
	v_cndmask_b32_e32 v5, v5, v12, vcc_lo
	v_cndmask_b32_e32 v4, v4, v11, vcc_lo
	v_and_b32_e32 v1, v5, v1
	v_and_b32_e32 v0, v4, v0
	v_mul_lo_u32 v1, v1, 24
	v_mul_hi_u32 v11, v0, 24
	v_mul_lo_u32 v0, v0, 24
	v_add_nc_u32_e32 v1, v11, v1
	s_waitcnt vmcnt(0)
	v_add_co_u32 v0, vcc_lo, v6, v0
	v_mov_b32_e32 v6, v9
	v_add_co_ci_u32_e32 v1, vcc_lo, v7, v1, vcc_lo
	v_mov_b32_e32 v7, v10
	global_store_dwordx2 v[0:1], v[9:10], off
	s_waitcnt_vscnt null, 0x0
	global_atomic_cmpswap_x2 v[6:7], v8, v[4:7], s[38:39] offset:24 glc
	s_waitcnt vmcnt(0)
	v_cmp_ne_u64_e32 vcc_lo, v[6:7], v[9:10]
	s_and_b32 exec_lo, exec_lo, vcc_lo
	s_cbranch_execz .LBB6_1121
; %bb.1119:
	s_mov_b32 s4, 0
.LBB6_1120:                             ; =>This Inner Loop Header: Depth=1
	s_sleep 1
	global_store_dwordx2 v[0:1], v[6:7], off
	s_waitcnt_vscnt null, 0x0
	global_atomic_cmpswap_x2 v[9:10], v8, v[4:7], s[38:39] offset:24 glc
	s_waitcnt vmcnt(0)
	v_cmp_eq_u64_e32 vcc_lo, v[9:10], v[6:7]
	v_mov_b32_e32 v6, v9
	v_mov_b32_e32 v7, v10
	s_or_b32 s4, vcc_lo, s4
	s_andn2_b32 exec_lo, exec_lo, s4
	s_cbranch_execnz .LBB6_1120
.LBB6_1121:
	s_or_b32 exec_lo, exec_lo, s5
.LBB6_1122:
	v_readfirstlane_b32 s4, v42
	s_waitcnt vmcnt(0)
	v_mov_b32_e32 v0, 0
	v_mov_b32_e32 v1, 0
	v_cmp_eq_u32_e64 s4, s4, v42
	s_and_saveexec_b32 s5, s4
	s_cbranch_execz .LBB6_1128
; %bb.1123:
	v_mov_b32_e32 v4, 0
	s_mov_b32 s6, exec_lo
	global_load_dwordx2 v[7:8], v4, s[38:39] offset:24 glc dlc
	s_waitcnt vmcnt(0)
	buffer_gl1_inv
	buffer_gl0_inv
	s_clause 0x1
	global_load_dwordx2 v[0:1], v4, s[38:39] offset:40
	global_load_dwordx2 v[5:6], v4, s[38:39]
	s_waitcnt vmcnt(1)
	v_and_b32_e32 v1, v1, v8
	v_and_b32_e32 v0, v0, v7
	v_mul_lo_u32 v1, v1, 24
	v_mul_hi_u32 v9, v0, 24
	v_mul_lo_u32 v0, v0, 24
	v_add_nc_u32_e32 v1, v9, v1
	s_waitcnt vmcnt(0)
	v_add_co_u32 v0, vcc_lo, v5, v0
	v_add_co_ci_u32_e32 v1, vcc_lo, v6, v1, vcc_lo
	global_load_dwordx2 v[5:6], v[0:1], off glc dlc
	s_waitcnt vmcnt(0)
	global_atomic_cmpswap_x2 v[0:1], v4, v[5:8], s[38:39] offset:24 glc
	s_waitcnt vmcnt(0)
	buffer_gl1_inv
	buffer_gl0_inv
	v_cmpx_ne_u64_e64 v[0:1], v[7:8]
	s_cbranch_execz .LBB6_1127
; %bb.1124:
	s_mov_b32 s7, 0
.LBB6_1125:                             ; =>This Inner Loop Header: Depth=1
	s_sleep 1
	s_clause 0x1
	global_load_dwordx2 v[5:6], v4, s[38:39] offset:40
	global_load_dwordx2 v[9:10], v4, s[38:39]
	v_mov_b32_e32 v8, v1
	v_mov_b32_e32 v7, v0
	s_waitcnt vmcnt(1)
	v_and_b32_e32 v0, v5, v7
	v_and_b32_e32 v5, v6, v8
	s_waitcnt vmcnt(0)
	v_mad_u64_u32 v[0:1], null, v0, 24, v[9:10]
	v_mad_u64_u32 v[5:6], null, v5, 24, v[1:2]
	v_mov_b32_e32 v1, v5
	global_load_dwordx2 v[5:6], v[0:1], off glc dlc
	s_waitcnt vmcnt(0)
	global_atomic_cmpswap_x2 v[0:1], v4, v[5:8], s[38:39] offset:24 glc
	s_waitcnt vmcnt(0)
	buffer_gl1_inv
	buffer_gl0_inv
	v_cmp_eq_u64_e32 vcc_lo, v[0:1], v[7:8]
	s_or_b32 s7, vcc_lo, s7
	s_andn2_b32 exec_lo, exec_lo, s7
	s_cbranch_execnz .LBB6_1125
; %bb.1126:
	s_or_b32 exec_lo, exec_lo, s7
.LBB6_1127:
	s_or_b32 exec_lo, exec_lo, s6
.LBB6_1128:
	s_or_b32 exec_lo, exec_lo, s5
	v_mov_b32_e32 v5, 0
	v_readfirstlane_b32 s6, v0
	v_readfirstlane_b32 s7, v1
	s_mov_b32 s5, exec_lo
	s_clause 0x1
	global_load_dwordx2 v[10:11], v5, s[38:39] offset:40
	global_load_dwordx4 v[6:9], v5, s[38:39]
	s_waitcnt vmcnt(1)
	v_readfirstlane_b32 s8, v10
	v_readfirstlane_b32 s9, v11
	s_and_b64 s[8:9], s[6:7], s[8:9]
	s_mul_i32 s10, s9, 24
	s_mul_hi_u32 s11, s8, 24
	s_mul_i32 s12, s8, 24
	s_add_i32 s11, s11, s10
	s_waitcnt vmcnt(0)
	v_add_co_u32 v10, vcc_lo, v6, s12
	v_add_co_ci_u32_e32 v11, vcc_lo, s11, v7, vcc_lo
	s_and_saveexec_b32 s10, s4
	s_cbranch_execz .LBB6_1130
; %bb.1129:
	v_mov_b32_e32 v4, s5
	v_mov_b32_e32 v13, v5
	v_mov_b32_e32 v14, 2
	v_mov_b32_e32 v15, 1
	v_mov_b32_e32 v12, v4
	global_store_dwordx4 v[10:11], v[12:15], off offset:8
.LBB6_1130:
	s_or_b32 exec_lo, exec_lo, s10
	s_lshl_b64 s[8:9], s[8:9], 12
	v_and_or_b32 v2, 0xffffff1d, v2, 34
	v_add_co_u32 v0, vcc_lo, v8, s8
	v_add_co_ci_u32_e32 v1, vcc_lo, s9, v9, vcc_lo
	s_mov_b32 s8, 0
	v_mov_b32_e32 v4, 58
	s_mov_b32 s11, s8
	s_mov_b32 s9, s8
	s_mov_b32 s10, s8
	v_readfirstlane_b32 s12, v0
	v_readfirstlane_b32 s13, v1
	v_mov_b32_e32 v15, s11
	v_mov_b32_e32 v14, s10
	;; [unrolled: 1-line block ×4, first 2 shown]
	global_store_dwordx4 v41, v[2:5], s[12:13]
	global_store_dwordx4 v41, v[12:15], s[12:13] offset:16
	global_store_dwordx4 v41, v[12:15], s[12:13] offset:32
	;; [unrolled: 1-line block ×3, first 2 shown]
	s_and_saveexec_b32 s5, s4
	s_cbranch_execz .LBB6_1138
; %bb.1131:
	v_mov_b32_e32 v8, 0
	v_mov_b32_e32 v12, s6
	;; [unrolled: 1-line block ×3, first 2 shown]
	s_clause 0x1
	global_load_dwordx2 v[14:15], v8, s[38:39] offset:32 glc dlc
	global_load_dwordx2 v[0:1], v8, s[38:39] offset:40
	s_waitcnt vmcnt(0)
	v_readfirstlane_b32 s8, v0
	v_readfirstlane_b32 s9, v1
	s_and_b64 s[8:9], s[8:9], s[6:7]
	s_mul_i32 s9, s9, 24
	s_mul_hi_u32 s10, s8, 24
	s_mul_i32 s8, s8, 24
	s_add_i32 s10, s10, s9
	v_add_co_u32 v4, vcc_lo, v6, s8
	v_add_co_ci_u32_e32 v5, vcc_lo, s10, v7, vcc_lo
	s_mov_b32 s8, exec_lo
	global_store_dwordx2 v[4:5], v[14:15], off
	s_waitcnt_vscnt null, 0x0
	global_atomic_cmpswap_x2 v[2:3], v8, v[12:15], s[38:39] offset:32 glc
	s_waitcnt vmcnt(0)
	v_cmpx_ne_u64_e64 v[2:3], v[14:15]
	s_cbranch_execz .LBB6_1134
; %bb.1132:
	s_mov_b32 s9, 0
.LBB6_1133:                             ; =>This Inner Loop Header: Depth=1
	v_mov_b32_e32 v0, s6
	v_mov_b32_e32 v1, s7
	s_sleep 1
	global_store_dwordx2 v[4:5], v[2:3], off
	s_waitcnt_vscnt null, 0x0
	global_atomic_cmpswap_x2 v[0:1], v8, v[0:3], s[38:39] offset:32 glc
	s_waitcnt vmcnt(0)
	v_cmp_eq_u64_e32 vcc_lo, v[0:1], v[2:3]
	v_mov_b32_e32 v3, v1
	v_mov_b32_e32 v2, v0
	s_or_b32 s9, vcc_lo, s9
	s_andn2_b32 exec_lo, exec_lo, s9
	s_cbranch_execnz .LBB6_1133
.LBB6_1134:
	s_or_b32 exec_lo, exec_lo, s8
	v_mov_b32_e32 v3, 0
	s_mov_b32 s9, exec_lo
	s_mov_b32 s8, exec_lo
	v_mbcnt_lo_u32_b32 v2, s9, 0
	global_load_dwordx2 v[0:1], v3, s[38:39] offset:16
	v_cmpx_eq_u32_e32 0, v2
	s_cbranch_execz .LBB6_1136
; %bb.1135:
	s_bcnt1_i32_b32 s9, s9
	v_mov_b32_e32 v2, s9
	s_waitcnt vmcnt(0)
	global_atomic_add_x2 v[0:1], v[2:3], off offset:8
.LBB6_1136:
	s_or_b32 exec_lo, exec_lo, s8
	s_waitcnt vmcnt(0)
	global_load_dwordx2 v[2:3], v[0:1], off offset:16
	s_waitcnt vmcnt(0)
	v_cmp_eq_u64_e32 vcc_lo, 0, v[2:3]
	s_cbranch_vccnz .LBB6_1138
; %bb.1137:
	global_load_dword v0, v[0:1], off offset:24
	v_mov_b32_e32 v1, 0
	s_waitcnt vmcnt(0)
	v_and_b32_e32 v4, 0x7fffff, v0
	s_waitcnt_vscnt null, 0x0
	global_store_dwordx2 v[2:3], v[0:1], off
	v_readfirstlane_b32 m0, v4
	s_sendmsg sendmsg(MSG_INTERRUPT)
.LBB6_1138:
	s_or_b32 exec_lo, exec_lo, s5
	s_branch .LBB6_1142
	.p2align	6
.LBB6_1139:                             ;   in Loop: Header=BB6_1142 Depth=1
	s_or_b32 exec_lo, exec_lo, s5
	v_readfirstlane_b32 s5, v0
	s_cmp_eq_u32 s5, 0
	s_cbranch_scc1 .LBB6_1141
; %bb.1140:                             ;   in Loop: Header=BB6_1142 Depth=1
	s_sleep 1
	s_cbranch_execnz .LBB6_1142
	s_branch .LBB6_1144
	.p2align	6
.LBB6_1141:
	s_branch .LBB6_1144
.LBB6_1142:                             ; =>This Inner Loop Header: Depth=1
	v_mov_b32_e32 v0, 1
	s_and_saveexec_b32 s5, s4
	s_cbranch_execz .LBB6_1139
; %bb.1143:                             ;   in Loop: Header=BB6_1142 Depth=1
	global_load_dword v0, v[10:11], off offset:20 glc dlc
	s_waitcnt vmcnt(0)
	buffer_gl1_inv
	buffer_gl0_inv
	v_and_b32_e32 v0, 1, v0
	s_branch .LBB6_1139
.LBB6_1144:
	s_and_saveexec_b32 s5, s4
	s_cbranch_execz .LBB6_1148
; %bb.1145:
	v_mov_b32_e32 v6, 0
	s_clause 0x2
	global_load_dwordx2 v[2:3], v6, s[38:39] offset:40
	global_load_dwordx2 v[7:8], v6, s[38:39] offset:24 glc dlc
	global_load_dwordx2 v[4:5], v6, s[38:39]
	s_waitcnt vmcnt(2)
	v_add_co_u32 v9, vcc_lo, v2, 1
	v_add_co_ci_u32_e32 v10, vcc_lo, 0, v3, vcc_lo
	v_add_co_u32 v0, vcc_lo, v9, s6
	v_add_co_ci_u32_e32 v1, vcc_lo, s7, v10, vcc_lo
	v_cmp_eq_u64_e32 vcc_lo, 0, v[0:1]
	v_cndmask_b32_e32 v1, v1, v10, vcc_lo
	v_cndmask_b32_e32 v0, v0, v9, vcc_lo
	v_and_b32_e32 v3, v1, v3
	v_and_b32_e32 v2, v0, v2
	v_mul_lo_u32 v3, v3, 24
	v_mul_hi_u32 v9, v2, 24
	v_mul_lo_u32 v2, v2, 24
	v_add_nc_u32_e32 v3, v9, v3
	s_waitcnt vmcnt(0)
	v_add_co_u32 v4, vcc_lo, v4, v2
	v_mov_b32_e32 v2, v7
	v_add_co_ci_u32_e32 v5, vcc_lo, v5, v3, vcc_lo
	v_mov_b32_e32 v3, v8
	global_store_dwordx2 v[4:5], v[7:8], off
	s_waitcnt_vscnt null, 0x0
	global_atomic_cmpswap_x2 v[2:3], v6, v[0:3], s[38:39] offset:24 glc
	s_waitcnt vmcnt(0)
	v_cmp_ne_u64_e32 vcc_lo, v[2:3], v[7:8]
	s_and_b32 exec_lo, exec_lo, vcc_lo
	s_cbranch_execz .LBB6_1148
; %bb.1146:
	s_mov_b32 s4, 0
.LBB6_1147:                             ; =>This Inner Loop Header: Depth=1
	s_sleep 1
	global_store_dwordx2 v[4:5], v[2:3], off
	s_waitcnt_vscnt null, 0x0
	global_atomic_cmpswap_x2 v[7:8], v6, v[0:3], s[38:39] offset:24 glc
	s_waitcnt vmcnt(0)
	v_cmp_eq_u64_e32 vcc_lo, v[7:8], v[2:3]
	v_mov_b32_e32 v2, v7
	v_mov_b32_e32 v3, v8
	s_or_b32 s4, vcc_lo, s4
	s_andn2_b32 exec_lo, exec_lo, s4
	s_cbranch_execnz .LBB6_1147
.LBB6_1148:
	s_or_b32 exec_lo, exec_lo, s5
	v_readfirstlane_b32 s4, v42
	v_mov_b32_e32 v6, 0
	v_mov_b32_e32 v7, 0
	v_cmp_eq_u32_e64 s4, s4, v42
	s_and_saveexec_b32 s5, s4
	s_cbranch_execz .LBB6_1154
; %bb.1149:
	v_mov_b32_e32 v0, 0
	s_mov_b32 s6, exec_lo
	global_load_dwordx2 v[3:4], v0, s[38:39] offset:24 glc dlc
	s_waitcnt vmcnt(0)
	buffer_gl1_inv
	buffer_gl0_inv
	s_clause 0x1
	global_load_dwordx2 v[1:2], v0, s[38:39] offset:40
	global_load_dwordx2 v[5:6], v0, s[38:39]
	s_waitcnt vmcnt(1)
	v_and_b32_e32 v2, v2, v4
	v_and_b32_e32 v1, v1, v3
	v_mul_lo_u32 v2, v2, 24
	v_mul_hi_u32 v7, v1, 24
	v_mul_lo_u32 v1, v1, 24
	v_add_nc_u32_e32 v2, v7, v2
	s_waitcnt vmcnt(0)
	v_add_co_u32 v1, vcc_lo, v5, v1
	v_add_co_ci_u32_e32 v2, vcc_lo, v6, v2, vcc_lo
	global_load_dwordx2 v[1:2], v[1:2], off glc dlc
	s_waitcnt vmcnt(0)
	global_atomic_cmpswap_x2 v[6:7], v0, v[1:4], s[38:39] offset:24 glc
	s_waitcnt vmcnt(0)
	buffer_gl1_inv
	buffer_gl0_inv
	v_cmpx_ne_u64_e64 v[6:7], v[3:4]
	s_cbranch_execz .LBB6_1153
; %bb.1150:
	s_mov_b32 s7, 0
.LBB6_1151:                             ; =>This Inner Loop Header: Depth=1
	s_sleep 1
	s_clause 0x1
	global_load_dwordx2 v[1:2], v0, s[38:39] offset:40
	global_load_dwordx2 v[8:9], v0, s[38:39]
	v_mov_b32_e32 v3, v6
	v_mov_b32_e32 v4, v7
	s_waitcnt vmcnt(1)
	v_and_b32_e32 v1, v1, v3
	v_and_b32_e32 v2, v2, v4
	s_waitcnt vmcnt(0)
	v_mad_u64_u32 v[5:6], null, v1, 24, v[8:9]
	v_mov_b32_e32 v1, v6
	v_mad_u64_u32 v[1:2], null, v2, 24, v[1:2]
	v_mov_b32_e32 v6, v1
	global_load_dwordx2 v[1:2], v[5:6], off glc dlc
	s_waitcnt vmcnt(0)
	global_atomic_cmpswap_x2 v[6:7], v0, v[1:4], s[38:39] offset:24 glc
	s_waitcnt vmcnt(0)
	buffer_gl1_inv
	buffer_gl0_inv
	v_cmp_eq_u64_e32 vcc_lo, v[6:7], v[3:4]
	s_or_b32 s7, vcc_lo, s7
	s_andn2_b32 exec_lo, exec_lo, s7
	s_cbranch_execnz .LBB6_1151
; %bb.1152:
	s_or_b32 exec_lo, exec_lo, s7
.LBB6_1153:
	s_or_b32 exec_lo, exec_lo, s6
.LBB6_1154:
	s_or_b32 exec_lo, exec_lo, s5
	v_mov_b32_e32 v5, 0
	v_readfirstlane_b32 s6, v6
	v_readfirstlane_b32 s7, v7
	s_mov_b32 s5, exec_lo
	s_clause 0x1
	global_load_dwordx2 v[8:9], v5, s[38:39] offset:40
	global_load_dwordx4 v[0:3], v5, s[38:39]
	s_waitcnt vmcnt(1)
	v_readfirstlane_b32 s8, v8
	v_readfirstlane_b32 s9, v9
	s_and_b64 s[8:9], s[6:7], s[8:9]
	s_mul_i32 s10, s9, 24
	s_mul_hi_u32 s11, s8, 24
	s_mul_i32 s12, s8, 24
	s_add_i32 s11, s11, s10
	s_waitcnt vmcnt(0)
	v_add_co_u32 v8, vcc_lo, v0, s12
	v_add_co_ci_u32_e32 v9, vcc_lo, s11, v1, vcc_lo
	s_and_saveexec_b32 s10, s4
	s_cbranch_execz .LBB6_1156
; %bb.1155:
	v_mov_b32_e32 v4, s5
	v_mov_b32_e32 v6, 2
	;; [unrolled: 1-line block ×3, first 2 shown]
	global_store_dwordx4 v[8:9], v[4:7], off offset:8
.LBB6_1156:
	s_or_b32 exec_lo, exec_lo, s10
	s_lshl_b64 s[8:9], s[8:9], 12
	v_mov_b32_e32 v4, 33
	v_add_co_u32 v2, vcc_lo, v2, s8
	v_add_co_ci_u32_e32 v3, vcc_lo, s9, v3, vcc_lo
	s_mov_b32 s8, 0
	v_add_co_u32 v10, vcc_lo, v2, v41
	s_mov_b32 s11, s8
	s_mov_b32 s9, s8
	;; [unrolled: 1-line block ×3, first 2 shown]
	v_mov_b32_e32 v6, v5
	v_mov_b32_e32 v7, v5
	v_readfirstlane_b32 s12, v2
	v_readfirstlane_b32 s13, v3
	v_mov_b32_e32 v15, s11
	v_add_co_ci_u32_e32 v11, vcc_lo, 0, v3, vcc_lo
	v_mov_b32_e32 v14, s10
	v_mov_b32_e32 v13, s9
	;; [unrolled: 1-line block ×3, first 2 shown]
	global_store_dwordx4 v41, v[4:7], s[12:13]
	global_store_dwordx4 v41, v[12:15], s[12:13] offset:16
	global_store_dwordx4 v41, v[12:15], s[12:13] offset:32
	global_store_dwordx4 v41, v[12:15], s[12:13] offset:48
	s_and_saveexec_b32 s5, s4
	s_cbranch_execz .LBB6_1164
; %bb.1157:
	v_mov_b32_e32 v6, 0
	v_mov_b32_e32 v12, s6
	;; [unrolled: 1-line block ×3, first 2 shown]
	s_clause 0x1
	global_load_dwordx2 v[14:15], v6, s[38:39] offset:32 glc dlc
	global_load_dwordx2 v[2:3], v6, s[38:39] offset:40
	s_waitcnt vmcnt(0)
	v_readfirstlane_b32 s8, v2
	v_readfirstlane_b32 s9, v3
	s_and_b64 s[8:9], s[8:9], s[6:7]
	s_mul_i32 s9, s9, 24
	s_mul_hi_u32 s10, s8, 24
	s_mul_i32 s8, s8, 24
	s_add_i32 s10, s10, s9
	v_add_co_u32 v4, vcc_lo, v0, s8
	v_add_co_ci_u32_e32 v5, vcc_lo, s10, v1, vcc_lo
	s_mov_b32 s8, exec_lo
	global_store_dwordx2 v[4:5], v[14:15], off
	s_waitcnt_vscnt null, 0x0
	global_atomic_cmpswap_x2 v[2:3], v6, v[12:15], s[38:39] offset:32 glc
	s_waitcnt vmcnt(0)
	v_cmpx_ne_u64_e64 v[2:3], v[14:15]
	s_cbranch_execz .LBB6_1160
; %bb.1158:
	s_mov_b32 s9, 0
.LBB6_1159:                             ; =>This Inner Loop Header: Depth=1
	v_mov_b32_e32 v0, s6
	v_mov_b32_e32 v1, s7
	s_sleep 1
	global_store_dwordx2 v[4:5], v[2:3], off
	s_waitcnt_vscnt null, 0x0
	global_atomic_cmpswap_x2 v[0:1], v6, v[0:3], s[38:39] offset:32 glc
	s_waitcnt vmcnt(0)
	v_cmp_eq_u64_e32 vcc_lo, v[0:1], v[2:3]
	v_mov_b32_e32 v3, v1
	v_mov_b32_e32 v2, v0
	s_or_b32 s9, vcc_lo, s9
	s_andn2_b32 exec_lo, exec_lo, s9
	s_cbranch_execnz .LBB6_1159
.LBB6_1160:
	s_or_b32 exec_lo, exec_lo, s8
	v_mov_b32_e32 v3, 0
	s_mov_b32 s9, exec_lo
	s_mov_b32 s8, exec_lo
	v_mbcnt_lo_u32_b32 v2, s9, 0
	global_load_dwordx2 v[0:1], v3, s[38:39] offset:16
	v_cmpx_eq_u32_e32 0, v2
	s_cbranch_execz .LBB6_1162
; %bb.1161:
	s_bcnt1_i32_b32 s9, s9
	v_mov_b32_e32 v2, s9
	s_waitcnt vmcnt(0)
	global_atomic_add_x2 v[0:1], v[2:3], off offset:8
.LBB6_1162:
	s_or_b32 exec_lo, exec_lo, s8
	s_waitcnt vmcnt(0)
	global_load_dwordx2 v[2:3], v[0:1], off offset:16
	s_waitcnt vmcnt(0)
	v_cmp_eq_u64_e32 vcc_lo, 0, v[2:3]
	s_cbranch_vccnz .LBB6_1164
; %bb.1163:
	global_load_dword v0, v[0:1], off offset:24
	v_mov_b32_e32 v1, 0
	s_waitcnt vmcnt(0)
	v_and_b32_e32 v4, 0x7fffff, v0
	s_waitcnt_vscnt null, 0x0
	global_store_dwordx2 v[2:3], v[0:1], off
	v_readfirstlane_b32 m0, v4
	s_sendmsg sendmsg(MSG_INTERRUPT)
.LBB6_1164:
	s_or_b32 exec_lo, exec_lo, s5
	s_branch .LBB6_1168
	.p2align	6
.LBB6_1165:                             ;   in Loop: Header=BB6_1168 Depth=1
	s_or_b32 exec_lo, exec_lo, s5
	v_readfirstlane_b32 s5, v0
	s_cmp_eq_u32 s5, 0
	s_cbranch_scc1 .LBB6_1167
; %bb.1166:                             ;   in Loop: Header=BB6_1168 Depth=1
	s_sleep 1
	s_cbranch_execnz .LBB6_1168
	s_branch .LBB6_1170
	.p2align	6
.LBB6_1167:
	s_branch .LBB6_1170
.LBB6_1168:                             ; =>This Inner Loop Header: Depth=1
	v_mov_b32_e32 v0, 1
	s_and_saveexec_b32 s5, s4
	s_cbranch_execz .LBB6_1165
; %bb.1169:                             ;   in Loop: Header=BB6_1168 Depth=1
	global_load_dword v0, v[8:9], off offset:20 glc dlc
	s_waitcnt vmcnt(0)
	buffer_gl1_inv
	buffer_gl0_inv
	v_and_b32_e32 v0, 1, v0
	s_branch .LBB6_1165
.LBB6_1170:
	global_load_dwordx2 v[0:1], v[10:11], off
	s_and_saveexec_b32 s5, s4
	s_cbranch_execz .LBB6_1174
; %bb.1171:
	v_mov_b32_e32 v8, 0
	s_clause 0x2
	global_load_dwordx2 v[4:5], v8, s[38:39] offset:40
	global_load_dwordx2 v[9:10], v8, s[38:39] offset:24 glc dlc
	global_load_dwordx2 v[6:7], v8, s[38:39]
	s_waitcnt vmcnt(2)
	v_add_co_u32 v11, vcc_lo, v4, 1
	v_add_co_ci_u32_e32 v12, vcc_lo, 0, v5, vcc_lo
	v_add_co_u32 v2, vcc_lo, v11, s6
	v_add_co_ci_u32_e32 v3, vcc_lo, s7, v12, vcc_lo
	v_cmp_eq_u64_e32 vcc_lo, 0, v[2:3]
	v_cndmask_b32_e32 v3, v3, v12, vcc_lo
	v_cndmask_b32_e32 v2, v2, v11, vcc_lo
	v_and_b32_e32 v5, v3, v5
	v_and_b32_e32 v4, v2, v4
	v_mul_lo_u32 v5, v5, 24
	v_mul_hi_u32 v11, v4, 24
	v_mul_lo_u32 v4, v4, 24
	v_add_nc_u32_e32 v5, v11, v5
	s_waitcnt vmcnt(0)
	v_add_co_u32 v6, vcc_lo, v6, v4
	v_mov_b32_e32 v4, v9
	v_add_co_ci_u32_e32 v7, vcc_lo, v7, v5, vcc_lo
	v_mov_b32_e32 v5, v10
	global_store_dwordx2 v[6:7], v[9:10], off
	s_waitcnt_vscnt null, 0x0
	global_atomic_cmpswap_x2 v[4:5], v8, v[2:5], s[38:39] offset:24 glc
	s_waitcnt vmcnt(0)
	v_cmp_ne_u64_e32 vcc_lo, v[4:5], v[9:10]
	s_and_b32 exec_lo, exec_lo, vcc_lo
	s_cbranch_execz .LBB6_1174
; %bb.1172:
	s_mov_b32 s4, 0
.LBB6_1173:                             ; =>This Inner Loop Header: Depth=1
	s_sleep 1
	global_store_dwordx2 v[6:7], v[4:5], off
	s_waitcnt_vscnt null, 0x0
	global_atomic_cmpswap_x2 v[9:10], v8, v[2:5], s[38:39] offset:24 glc
	s_waitcnt vmcnt(0)
	v_cmp_eq_u64_e32 vcc_lo, v[9:10], v[4:5]
	v_mov_b32_e32 v4, v9
	v_mov_b32_e32 v5, v10
	s_or_b32 s4, vcc_lo, s4
	s_andn2_b32 exec_lo, exec_lo, s4
	s_cbranch_execnz .LBB6_1173
.LBB6_1174:
	s_or_b32 exec_lo, exec_lo, s5
	s_and_b32 vcc_lo, exec_lo, s42
	s_cbranch_vccz .LBB6_1253
; %bb.1175:
	s_waitcnt vmcnt(0)
	v_and_b32_e32 v31, 2, v0
	v_mov_b32_e32 v6, 0
	v_and_b32_e32 v2, -3, v0
	v_mov_b32_e32 v3, v1
	v_mov_b32_e32 v7, 2
	;; [unrolled: 1-line block ×3, first 2 shown]
	s_mov_b64 s[8:9], 3
	s_getpc_b64 s[6:7]
	s_add_u32 s6, s6, .str.9@rel32@lo+4
	s_addc_u32 s7, s7, .str.9@rel32@hi+12
	s_branch .LBB6_1177
.LBB6_1176:                             ;   in Loop: Header=BB6_1177 Depth=1
	s_or_b32 exec_lo, exec_lo, s5
	s_sub_u32 s8, s8, s10
	s_subb_u32 s9, s9, s11
	s_add_u32 s6, s6, s10
	s_addc_u32 s7, s7, s11
	s_cmp_lg_u64 s[8:9], 0
	s_cbranch_scc0 .LBB6_1252
.LBB6_1177:                             ; =>This Loop Header: Depth=1
                                        ;     Child Loop BB6_1186 Depth 2
                                        ;     Child Loop BB6_1182 Depth 2
	;; [unrolled: 1-line block ×11, first 2 shown]
	v_cmp_lt_u64_e64 s4, s[8:9], 56
	v_cmp_gt_u64_e64 s5, s[8:9], 7
                                        ; implicit-def: $vgpr11_vgpr12
                                        ; implicit-def: $sgpr17
	s_and_b32 s4, s4, exec_lo
	s_cselect_b32 s11, s9, 0
	s_cselect_b32 s10, s8, 56
	s_and_b32 vcc_lo, exec_lo, s5
	s_mov_b32 s4, -1
	s_cbranch_vccz .LBB6_1184
; %bb.1178:                             ;   in Loop: Header=BB6_1177 Depth=1
	s_andn2_b32 vcc_lo, exec_lo, s4
	s_mov_b64 s[4:5], s[6:7]
	s_cbranch_vccz .LBB6_1188
.LBB6_1179:                             ;   in Loop: Header=BB6_1177 Depth=1
	s_cmp_gt_u32 s17, 7
	s_cbranch_scc1 .LBB6_1189
.LBB6_1180:                             ;   in Loop: Header=BB6_1177 Depth=1
	v_mov_b32_e32 v13, 0
	v_mov_b32_e32 v14, 0
	s_cmp_eq_u32 s17, 0
	s_cbranch_scc1 .LBB6_1183
; %bb.1181:                             ;   in Loop: Header=BB6_1177 Depth=1
	s_mov_b64 s[12:13], 0
	s_mov_b64 s[14:15], 0
.LBB6_1182:                             ;   Parent Loop BB6_1177 Depth=1
                                        ; =>  This Inner Loop Header: Depth=2
	s_add_u32 s18, s4, s14
	s_addc_u32 s19, s5, s15
	s_add_u32 s14, s14, 1
	global_load_ubyte v4, v6, s[18:19]
	s_addc_u32 s15, s15, 0
	s_waitcnt vmcnt(0)
	v_and_b32_e32 v5, 0xffff, v4
	v_lshlrev_b64 v[4:5], s12, v[5:6]
	s_add_u32 s12, s12, 8
	s_addc_u32 s13, s13, 0
	s_cmp_lg_u32 s17, s14
	v_or_b32_e32 v13, v4, v13
	v_or_b32_e32 v14, v5, v14
	s_cbranch_scc1 .LBB6_1182
.LBB6_1183:                             ;   in Loop: Header=BB6_1177 Depth=1
	s_mov_b32 s18, 0
	s_cbranch_execz .LBB6_1190
	s_branch .LBB6_1191
.LBB6_1184:                             ;   in Loop: Header=BB6_1177 Depth=1
	v_mov_b32_e32 v11, 0
	v_mov_b32_e32 v12, 0
	s_cmp_eq_u64 s[8:9], 0
	s_mov_b64 s[4:5], 0
	s_cbranch_scc1 .LBB6_1187
; %bb.1185:                             ;   in Loop: Header=BB6_1177 Depth=1
	v_mov_b32_e32 v11, 0
	v_mov_b32_e32 v12, 0
	s_lshl_b64 s[12:13], s[10:11], 3
	s_mov_b64 s[14:15], s[6:7]
.LBB6_1186:                             ;   Parent Loop BB6_1177 Depth=1
                                        ; =>  This Inner Loop Header: Depth=2
	global_load_ubyte v4, v6, s[14:15]
	s_waitcnt vmcnt(0)
	v_and_b32_e32 v5, 0xffff, v4
	v_lshlrev_b64 v[4:5], s4, v[5:6]
	s_add_u32 s4, s4, 8
	s_addc_u32 s5, s5, 0
	s_add_u32 s14, s14, 1
	s_addc_u32 s15, s15, 0
	s_cmp_lg_u32 s12, s4
	v_or_b32_e32 v11, v4, v11
	v_or_b32_e32 v12, v5, v12
	s_cbranch_scc1 .LBB6_1186
.LBB6_1187:                             ;   in Loop: Header=BB6_1177 Depth=1
	s_mov_b32 s17, 0
	s_mov_b64 s[4:5], s[6:7]
	s_cbranch_execnz .LBB6_1179
.LBB6_1188:                             ;   in Loop: Header=BB6_1177 Depth=1
	global_load_dwordx2 v[11:12], v6, s[6:7]
	s_add_i32 s17, s10, -8
	s_add_u32 s4, s6, 8
	s_addc_u32 s5, s7, 0
	s_cmp_gt_u32 s17, 7
	s_cbranch_scc0 .LBB6_1180
.LBB6_1189:                             ;   in Loop: Header=BB6_1177 Depth=1
                                        ; implicit-def: $vgpr13_vgpr14
                                        ; implicit-def: $sgpr18
.LBB6_1190:                             ;   in Loop: Header=BB6_1177 Depth=1
	global_load_dwordx2 v[13:14], v6, s[4:5]
	s_add_i32 s18, s17, -8
	s_add_u32 s4, s4, 8
	s_addc_u32 s5, s5, 0
.LBB6_1191:                             ;   in Loop: Header=BB6_1177 Depth=1
	s_cmp_gt_u32 s18, 7
	s_cbranch_scc1 .LBB6_1196
; %bb.1192:                             ;   in Loop: Header=BB6_1177 Depth=1
	v_mov_b32_e32 v15, 0
	v_mov_b32_e32 v16, 0
	s_cmp_eq_u32 s18, 0
	s_cbranch_scc1 .LBB6_1195
; %bb.1193:                             ;   in Loop: Header=BB6_1177 Depth=1
	s_mov_b64 s[12:13], 0
	s_mov_b64 s[14:15], 0
.LBB6_1194:                             ;   Parent Loop BB6_1177 Depth=1
                                        ; =>  This Inner Loop Header: Depth=2
	s_add_u32 s20, s4, s14
	s_addc_u32 s21, s5, s15
	s_add_u32 s14, s14, 1
	global_load_ubyte v4, v6, s[20:21]
	s_addc_u32 s15, s15, 0
	s_waitcnt vmcnt(0)
	v_and_b32_e32 v5, 0xffff, v4
	v_lshlrev_b64 v[4:5], s12, v[5:6]
	s_add_u32 s12, s12, 8
	s_addc_u32 s13, s13, 0
	s_cmp_lg_u32 s18, s14
	v_or_b32_e32 v15, v4, v15
	v_or_b32_e32 v16, v5, v16
	s_cbranch_scc1 .LBB6_1194
.LBB6_1195:                             ;   in Loop: Header=BB6_1177 Depth=1
	s_mov_b32 s17, 0
	s_cbranch_execz .LBB6_1197
	s_branch .LBB6_1198
.LBB6_1196:                             ;   in Loop: Header=BB6_1177 Depth=1
                                        ; implicit-def: $sgpr17
.LBB6_1197:                             ;   in Loop: Header=BB6_1177 Depth=1
	global_load_dwordx2 v[15:16], v6, s[4:5]
	s_add_i32 s17, s18, -8
	s_add_u32 s4, s4, 8
	s_addc_u32 s5, s5, 0
.LBB6_1198:                             ;   in Loop: Header=BB6_1177 Depth=1
	s_cmp_gt_u32 s17, 7
	s_cbranch_scc1 .LBB6_1203
; %bb.1199:                             ;   in Loop: Header=BB6_1177 Depth=1
	v_mov_b32_e32 v17, 0
	v_mov_b32_e32 v18, 0
	s_cmp_eq_u32 s17, 0
	s_cbranch_scc1 .LBB6_1202
; %bb.1200:                             ;   in Loop: Header=BB6_1177 Depth=1
	s_mov_b64 s[12:13], 0
	s_mov_b64 s[14:15], 0
.LBB6_1201:                             ;   Parent Loop BB6_1177 Depth=1
                                        ; =>  This Inner Loop Header: Depth=2
	s_add_u32 s18, s4, s14
	s_addc_u32 s19, s5, s15
	s_add_u32 s14, s14, 1
	global_load_ubyte v4, v6, s[18:19]
	s_addc_u32 s15, s15, 0
	s_waitcnt vmcnt(0)
	v_and_b32_e32 v5, 0xffff, v4
	v_lshlrev_b64 v[4:5], s12, v[5:6]
	s_add_u32 s12, s12, 8
	s_addc_u32 s13, s13, 0
	s_cmp_lg_u32 s17, s14
	v_or_b32_e32 v17, v4, v17
	v_or_b32_e32 v18, v5, v18
	s_cbranch_scc1 .LBB6_1201
.LBB6_1202:                             ;   in Loop: Header=BB6_1177 Depth=1
	s_mov_b32 s18, 0
	s_cbranch_execz .LBB6_1204
	s_branch .LBB6_1205
.LBB6_1203:                             ;   in Loop: Header=BB6_1177 Depth=1
                                        ; implicit-def: $vgpr17_vgpr18
                                        ; implicit-def: $sgpr18
.LBB6_1204:                             ;   in Loop: Header=BB6_1177 Depth=1
	global_load_dwordx2 v[17:18], v6, s[4:5]
	s_add_i32 s18, s17, -8
	s_add_u32 s4, s4, 8
	s_addc_u32 s5, s5, 0
.LBB6_1205:                             ;   in Loop: Header=BB6_1177 Depth=1
	s_cmp_gt_u32 s18, 7
	s_cbranch_scc1 .LBB6_1210
; %bb.1206:                             ;   in Loop: Header=BB6_1177 Depth=1
	v_mov_b32_e32 v19, 0
	v_mov_b32_e32 v20, 0
	s_cmp_eq_u32 s18, 0
	s_cbranch_scc1 .LBB6_1209
; %bb.1207:                             ;   in Loop: Header=BB6_1177 Depth=1
	s_mov_b64 s[12:13], 0
	s_mov_b64 s[14:15], 0
.LBB6_1208:                             ;   Parent Loop BB6_1177 Depth=1
                                        ; =>  This Inner Loop Header: Depth=2
	s_add_u32 s20, s4, s14
	s_addc_u32 s21, s5, s15
	s_add_u32 s14, s14, 1
	global_load_ubyte v4, v6, s[20:21]
	s_addc_u32 s15, s15, 0
	s_waitcnt vmcnt(0)
	v_and_b32_e32 v5, 0xffff, v4
	v_lshlrev_b64 v[4:5], s12, v[5:6]
	s_add_u32 s12, s12, 8
	s_addc_u32 s13, s13, 0
	s_cmp_lg_u32 s18, s14
	v_or_b32_e32 v19, v4, v19
	v_or_b32_e32 v20, v5, v20
	s_cbranch_scc1 .LBB6_1208
.LBB6_1209:                             ;   in Loop: Header=BB6_1177 Depth=1
	s_mov_b32 s17, 0
	s_cbranch_execz .LBB6_1211
	s_branch .LBB6_1212
.LBB6_1210:                             ;   in Loop: Header=BB6_1177 Depth=1
                                        ; implicit-def: $sgpr17
.LBB6_1211:                             ;   in Loop: Header=BB6_1177 Depth=1
	global_load_dwordx2 v[19:20], v6, s[4:5]
	s_add_i32 s17, s18, -8
	s_add_u32 s4, s4, 8
	s_addc_u32 s5, s5, 0
.LBB6_1212:                             ;   in Loop: Header=BB6_1177 Depth=1
	s_cmp_gt_u32 s17, 7
	s_cbranch_scc1 .LBB6_1217
; %bb.1213:                             ;   in Loop: Header=BB6_1177 Depth=1
	v_mov_b32_e32 v21, 0
	v_mov_b32_e32 v22, 0
	s_cmp_eq_u32 s17, 0
	s_cbranch_scc1 .LBB6_1216
; %bb.1214:                             ;   in Loop: Header=BB6_1177 Depth=1
	s_mov_b64 s[12:13], 0
	s_mov_b64 s[14:15], 0
.LBB6_1215:                             ;   Parent Loop BB6_1177 Depth=1
                                        ; =>  This Inner Loop Header: Depth=2
	s_add_u32 s18, s4, s14
	s_addc_u32 s19, s5, s15
	s_add_u32 s14, s14, 1
	global_load_ubyte v4, v6, s[18:19]
	s_addc_u32 s15, s15, 0
	s_waitcnt vmcnt(0)
	v_and_b32_e32 v5, 0xffff, v4
	v_lshlrev_b64 v[4:5], s12, v[5:6]
	s_add_u32 s12, s12, 8
	s_addc_u32 s13, s13, 0
	s_cmp_lg_u32 s17, s14
	v_or_b32_e32 v21, v4, v21
	v_or_b32_e32 v22, v5, v22
	s_cbranch_scc1 .LBB6_1215
.LBB6_1216:                             ;   in Loop: Header=BB6_1177 Depth=1
	s_mov_b32 s18, 0
	s_cbranch_execz .LBB6_1218
	s_branch .LBB6_1219
.LBB6_1217:                             ;   in Loop: Header=BB6_1177 Depth=1
                                        ; implicit-def: $vgpr21_vgpr22
                                        ; implicit-def: $sgpr18
.LBB6_1218:                             ;   in Loop: Header=BB6_1177 Depth=1
	global_load_dwordx2 v[21:22], v6, s[4:5]
	s_add_i32 s18, s17, -8
	s_add_u32 s4, s4, 8
	s_addc_u32 s5, s5, 0
.LBB6_1219:                             ;   in Loop: Header=BB6_1177 Depth=1
	s_cmp_gt_u32 s18, 7
	s_cbranch_scc1 .LBB6_1224
; %bb.1220:                             ;   in Loop: Header=BB6_1177 Depth=1
	v_mov_b32_e32 v23, 0
	v_mov_b32_e32 v24, 0
	s_cmp_eq_u32 s18, 0
	s_cbranch_scc1 .LBB6_1223
; %bb.1221:                             ;   in Loop: Header=BB6_1177 Depth=1
	s_mov_b64 s[12:13], 0
	s_mov_b64 s[14:15], s[4:5]
.LBB6_1222:                             ;   Parent Loop BB6_1177 Depth=1
                                        ; =>  This Inner Loop Header: Depth=2
	global_load_ubyte v4, v6, s[14:15]
	s_add_i32 s18, s18, -1
	s_waitcnt vmcnt(0)
	v_and_b32_e32 v5, 0xffff, v4
	v_lshlrev_b64 v[4:5], s12, v[5:6]
	s_add_u32 s12, s12, 8
	s_addc_u32 s13, s13, 0
	s_add_u32 s14, s14, 1
	s_addc_u32 s15, s15, 0
	s_cmp_lg_u32 s18, 0
	v_or_b32_e32 v23, v4, v23
	v_or_b32_e32 v24, v5, v24
	s_cbranch_scc1 .LBB6_1222
.LBB6_1223:                             ;   in Loop: Header=BB6_1177 Depth=1
	s_cbranch_execz .LBB6_1225
	s_branch .LBB6_1226
.LBB6_1224:                             ;   in Loop: Header=BB6_1177 Depth=1
.LBB6_1225:                             ;   in Loop: Header=BB6_1177 Depth=1
	global_load_dwordx2 v[23:24], v6, s[4:5]
.LBB6_1226:                             ;   in Loop: Header=BB6_1177 Depth=1
	v_readfirstlane_b32 s4, v42
	s_waitcnt vmcnt(0)
	v_mov_b32_e32 v4, 0
	v_mov_b32_e32 v5, 0
	v_cmp_eq_u32_e64 s4, s4, v42
	s_and_saveexec_b32 s5, s4
	s_cbranch_execz .LBB6_1232
; %bb.1227:                             ;   in Loop: Header=BB6_1177 Depth=1
	global_load_dwordx2 v[27:28], v6, s[38:39] offset:24 glc dlc
	s_waitcnt vmcnt(0)
	buffer_gl1_inv
	buffer_gl0_inv
	s_clause 0x1
	global_load_dwordx2 v[4:5], v6, s[38:39] offset:40
	global_load_dwordx2 v[9:10], v6, s[38:39]
	s_mov_b32 s12, exec_lo
	s_waitcnt vmcnt(1)
	v_and_b32_e32 v5, v5, v28
	v_and_b32_e32 v4, v4, v27
	v_mul_lo_u32 v5, v5, 24
	v_mul_hi_u32 v25, v4, 24
	v_mul_lo_u32 v4, v4, 24
	v_add_nc_u32_e32 v5, v25, v5
	s_waitcnt vmcnt(0)
	v_add_co_u32 v4, vcc_lo, v9, v4
	v_add_co_ci_u32_e32 v5, vcc_lo, v10, v5, vcc_lo
	global_load_dwordx2 v[25:26], v[4:5], off glc dlc
	s_waitcnt vmcnt(0)
	global_atomic_cmpswap_x2 v[4:5], v6, v[25:28], s[38:39] offset:24 glc
	s_waitcnt vmcnt(0)
	buffer_gl1_inv
	buffer_gl0_inv
	v_cmpx_ne_u64_e64 v[4:5], v[27:28]
	s_cbranch_execz .LBB6_1231
; %bb.1228:                             ;   in Loop: Header=BB6_1177 Depth=1
	s_mov_b32 s13, 0
	.p2align	6
.LBB6_1229:                             ;   Parent Loop BB6_1177 Depth=1
                                        ; =>  This Inner Loop Header: Depth=2
	s_sleep 1
	s_clause 0x1
	global_load_dwordx2 v[9:10], v6, s[38:39] offset:40
	global_load_dwordx2 v[25:26], v6, s[38:39]
	v_mov_b32_e32 v28, v5
	v_mov_b32_e32 v27, v4
	s_waitcnt vmcnt(1)
	v_and_b32_e32 v4, v9, v27
	v_and_b32_e32 v9, v10, v28
	s_waitcnt vmcnt(0)
	v_mad_u64_u32 v[4:5], null, v4, 24, v[25:26]
	v_mad_u64_u32 v[9:10], null, v9, 24, v[5:6]
	v_mov_b32_e32 v5, v9
	global_load_dwordx2 v[25:26], v[4:5], off glc dlc
	s_waitcnt vmcnt(0)
	global_atomic_cmpswap_x2 v[4:5], v6, v[25:28], s[38:39] offset:24 glc
	s_waitcnt vmcnt(0)
	buffer_gl1_inv
	buffer_gl0_inv
	v_cmp_eq_u64_e32 vcc_lo, v[4:5], v[27:28]
	s_or_b32 s13, vcc_lo, s13
	s_andn2_b32 exec_lo, exec_lo, s13
	s_cbranch_execnz .LBB6_1229
; %bb.1230:                             ;   in Loop: Header=BB6_1177 Depth=1
	s_or_b32 exec_lo, exec_lo, s13
.LBB6_1231:                             ;   in Loop: Header=BB6_1177 Depth=1
	s_or_b32 exec_lo, exec_lo, s12
.LBB6_1232:                             ;   in Loop: Header=BB6_1177 Depth=1
	s_or_b32 exec_lo, exec_lo, s5
	s_clause 0x1
	global_load_dwordx2 v[9:10], v6, s[38:39] offset:40
	global_load_dwordx4 v[25:28], v6, s[38:39]
	v_readfirstlane_b32 s12, v4
	v_readfirstlane_b32 s13, v5
	s_mov_b32 s5, exec_lo
	s_waitcnt vmcnt(1)
	v_readfirstlane_b32 s14, v9
	v_readfirstlane_b32 s15, v10
	s_and_b64 s[14:15], s[12:13], s[14:15]
	s_mul_i32 s17, s15, 24
	s_mul_hi_u32 s18, s14, 24
	s_mul_i32 s19, s14, 24
	s_add_i32 s18, s18, s17
	s_waitcnt vmcnt(0)
	v_add_co_u32 v29, vcc_lo, v25, s19
	v_add_co_ci_u32_e32 v30, vcc_lo, s18, v26, vcc_lo
	s_and_saveexec_b32 s17, s4
	s_cbranch_execz .LBB6_1234
; %bb.1233:                             ;   in Loop: Header=BB6_1177 Depth=1
	v_mov_b32_e32 v5, s5
	global_store_dwordx4 v[29:30], v[5:8], off offset:8
.LBB6_1234:                             ;   in Loop: Header=BB6_1177 Depth=1
	s_or_b32 exec_lo, exec_lo, s17
	s_lshl_b64 s[14:15], s[14:15], 12
	v_cmp_gt_u64_e64 vcc_lo, s[8:9], 56
	v_or_b32_e32 v5, v2, v31
	v_add_co_u32 v27, s5, v27, s14
	v_add_co_ci_u32_e64 v28, s5, s15, v28, s5
	s_lshl_b32 s5, s10, 2
	v_or_b32_e32 v4, 0, v3
	v_cndmask_b32_e32 v2, v5, v2, vcc_lo
	s_add_i32 s5, s5, 28
	v_readfirstlane_b32 s14, v27
	s_and_b32 s5, s5, 0x1e0
	v_cndmask_b32_e32 v10, v4, v3, vcc_lo
	v_readfirstlane_b32 s15, v28
	v_and_or_b32 v9, 0xffffff1f, v2, s5
	global_store_dwordx4 v41, v[9:12], s[14:15]
	global_store_dwordx4 v41, v[13:16], s[14:15] offset:16
	global_store_dwordx4 v41, v[17:20], s[14:15] offset:32
	;; [unrolled: 1-line block ×3, first 2 shown]
	s_and_saveexec_b32 s5, s4
	s_cbranch_execz .LBB6_1242
; %bb.1235:                             ;   in Loop: Header=BB6_1177 Depth=1
	s_clause 0x1
	global_load_dwordx2 v[13:14], v6, s[38:39] offset:32 glc dlc
	global_load_dwordx2 v[2:3], v6, s[38:39] offset:40
	v_mov_b32_e32 v11, s12
	v_mov_b32_e32 v12, s13
	s_waitcnt vmcnt(0)
	v_readfirstlane_b32 s14, v2
	v_readfirstlane_b32 s15, v3
	s_and_b64 s[14:15], s[14:15], s[12:13]
	s_mul_i32 s15, s15, 24
	s_mul_hi_u32 s17, s14, 24
	s_mul_i32 s14, s14, 24
	s_add_i32 s17, s17, s15
	v_add_co_u32 v9, vcc_lo, v25, s14
	v_add_co_ci_u32_e32 v10, vcc_lo, s17, v26, vcc_lo
	s_mov_b32 s14, exec_lo
	global_store_dwordx2 v[9:10], v[13:14], off
	s_waitcnt_vscnt null, 0x0
	global_atomic_cmpswap_x2 v[4:5], v6, v[11:14], s[38:39] offset:32 glc
	s_waitcnt vmcnt(0)
	v_cmpx_ne_u64_e64 v[4:5], v[13:14]
	s_cbranch_execz .LBB6_1238
; %bb.1236:                             ;   in Loop: Header=BB6_1177 Depth=1
	s_mov_b32 s15, 0
.LBB6_1237:                             ;   Parent Loop BB6_1177 Depth=1
                                        ; =>  This Inner Loop Header: Depth=2
	v_mov_b32_e32 v2, s12
	v_mov_b32_e32 v3, s13
	s_sleep 1
	global_store_dwordx2 v[9:10], v[4:5], off
	s_waitcnt_vscnt null, 0x0
	global_atomic_cmpswap_x2 v[2:3], v6, v[2:5], s[38:39] offset:32 glc
	s_waitcnt vmcnt(0)
	v_cmp_eq_u64_e32 vcc_lo, v[2:3], v[4:5]
	v_mov_b32_e32 v5, v3
	v_mov_b32_e32 v4, v2
	s_or_b32 s15, vcc_lo, s15
	s_andn2_b32 exec_lo, exec_lo, s15
	s_cbranch_execnz .LBB6_1237
.LBB6_1238:                             ;   in Loop: Header=BB6_1177 Depth=1
	s_or_b32 exec_lo, exec_lo, s14
	global_load_dwordx2 v[2:3], v6, s[38:39] offset:16
	s_mov_b32 s15, exec_lo
	s_mov_b32 s14, exec_lo
	v_mbcnt_lo_u32_b32 v4, s15, 0
	v_cmpx_eq_u32_e32 0, v4
	s_cbranch_execz .LBB6_1240
; %bb.1239:                             ;   in Loop: Header=BB6_1177 Depth=1
	s_bcnt1_i32_b32 s15, s15
	v_mov_b32_e32 v5, s15
	s_waitcnt vmcnt(0)
	global_atomic_add_x2 v[2:3], v[5:6], off offset:8
.LBB6_1240:                             ;   in Loop: Header=BB6_1177 Depth=1
	s_or_b32 exec_lo, exec_lo, s14
	s_waitcnt vmcnt(0)
	global_load_dwordx2 v[9:10], v[2:3], off offset:16
	s_waitcnt vmcnt(0)
	v_cmp_eq_u64_e32 vcc_lo, 0, v[9:10]
	s_cbranch_vccnz .LBB6_1242
; %bb.1241:                             ;   in Loop: Header=BB6_1177 Depth=1
	global_load_dword v5, v[2:3], off offset:24
	s_waitcnt vmcnt(0)
	v_and_b32_e32 v2, 0x7fffff, v5
	s_waitcnt_vscnt null, 0x0
	global_store_dwordx2 v[9:10], v[5:6], off
	v_readfirstlane_b32 m0, v2
	s_sendmsg sendmsg(MSG_INTERRUPT)
.LBB6_1242:                             ;   in Loop: Header=BB6_1177 Depth=1
	s_or_b32 exec_lo, exec_lo, s5
	v_add_co_u32 v2, vcc_lo, v27, v41
	v_add_co_ci_u32_e32 v3, vcc_lo, 0, v28, vcc_lo
	s_branch .LBB6_1246
	.p2align	6
.LBB6_1243:                             ;   in Loop: Header=BB6_1246 Depth=2
	s_or_b32 exec_lo, exec_lo, s5
	v_readfirstlane_b32 s5, v4
	s_cmp_eq_u32 s5, 0
	s_cbranch_scc1 .LBB6_1245
; %bb.1244:                             ;   in Loop: Header=BB6_1246 Depth=2
	s_sleep 1
	s_cbranch_execnz .LBB6_1246
	s_branch .LBB6_1248
	.p2align	6
.LBB6_1245:                             ;   in Loop: Header=BB6_1177 Depth=1
	s_branch .LBB6_1248
.LBB6_1246:                             ;   Parent Loop BB6_1177 Depth=1
                                        ; =>  This Inner Loop Header: Depth=2
	v_mov_b32_e32 v4, 1
	s_and_saveexec_b32 s5, s4
	s_cbranch_execz .LBB6_1243
; %bb.1247:                             ;   in Loop: Header=BB6_1246 Depth=2
	global_load_dword v4, v[29:30], off offset:20 glc dlc
	s_waitcnt vmcnt(0)
	buffer_gl1_inv
	buffer_gl0_inv
	v_and_b32_e32 v4, 1, v4
	s_branch .LBB6_1243
.LBB6_1248:                             ;   in Loop: Header=BB6_1177 Depth=1
	global_load_dwordx4 v[2:5], v[2:3], off
	s_and_saveexec_b32 s5, s4
	s_cbranch_execz .LBB6_1176
; %bb.1249:                             ;   in Loop: Header=BB6_1177 Depth=1
	s_clause 0x2
	global_load_dwordx2 v[4:5], v6, s[38:39] offset:40
	global_load_dwordx2 v[13:14], v6, s[38:39] offset:24 glc dlc
	global_load_dwordx2 v[11:12], v6, s[38:39]
	s_waitcnt vmcnt(2)
	v_add_co_u32 v15, vcc_lo, v4, 1
	v_add_co_ci_u32_e32 v16, vcc_lo, 0, v5, vcc_lo
	v_add_co_u32 v9, vcc_lo, v15, s12
	v_add_co_ci_u32_e32 v10, vcc_lo, s13, v16, vcc_lo
	v_cmp_eq_u64_e32 vcc_lo, 0, v[9:10]
	v_cndmask_b32_e32 v10, v10, v16, vcc_lo
	v_cndmask_b32_e32 v9, v9, v15, vcc_lo
	v_and_b32_e32 v5, v10, v5
	v_and_b32_e32 v4, v9, v4
	v_mul_lo_u32 v5, v5, 24
	v_mul_hi_u32 v15, v4, 24
	v_mul_lo_u32 v4, v4, 24
	v_add_nc_u32_e32 v5, v15, v5
	s_waitcnt vmcnt(0)
	v_add_co_u32 v4, vcc_lo, v11, v4
	v_mov_b32_e32 v11, v13
	v_add_co_ci_u32_e32 v5, vcc_lo, v12, v5, vcc_lo
	v_mov_b32_e32 v12, v14
	global_store_dwordx2 v[4:5], v[13:14], off
	s_waitcnt_vscnt null, 0x0
	global_atomic_cmpswap_x2 v[11:12], v6, v[9:12], s[38:39] offset:24 glc
	s_waitcnt vmcnt(0)
	v_cmp_ne_u64_e32 vcc_lo, v[11:12], v[13:14]
	s_and_b32 exec_lo, exec_lo, vcc_lo
	s_cbranch_execz .LBB6_1176
; %bb.1250:                             ;   in Loop: Header=BB6_1177 Depth=1
	s_mov_b32 s4, 0
.LBB6_1251:                             ;   Parent Loop BB6_1177 Depth=1
                                        ; =>  This Inner Loop Header: Depth=2
	s_sleep 1
	global_store_dwordx2 v[4:5], v[11:12], off
	s_waitcnt_vscnt null, 0x0
	global_atomic_cmpswap_x2 v[13:14], v6, v[9:12], s[38:39] offset:24 glc
	s_waitcnt vmcnt(0)
	v_cmp_eq_u64_e32 vcc_lo, v[13:14], v[11:12]
	v_mov_b32_e32 v11, v13
	v_mov_b32_e32 v12, v14
	s_or_b32 s4, vcc_lo, s4
	s_andn2_b32 exec_lo, exec_lo, s4
	s_cbranch_execnz .LBB6_1251
	s_branch .LBB6_1176
.LBB6_1252:
	s_mov_b32 s4, 0
	s_branch .LBB6_1254
.LBB6_1253:
	s_mov_b32 s4, -1
                                        ; implicit-def: $vgpr2_vgpr3
.LBB6_1254:
	s_and_b32 vcc_lo, exec_lo, s4
	s_cbranch_vccz .LBB6_1282
; %bb.1255:
	v_readfirstlane_b32 s4, v42
	v_mov_b32_e32 v8, 0
	v_mov_b32_e32 v9, 0
	v_cmp_eq_u32_e64 s4, s4, v42
	s_and_saveexec_b32 s5, s4
	s_cbranch_execz .LBB6_1261
; %bb.1256:
	s_waitcnt vmcnt(0)
	v_mov_b32_e32 v2, 0
	s_mov_b32 s6, exec_lo
	global_load_dwordx2 v[5:6], v2, s[38:39] offset:24 glc dlc
	s_waitcnt vmcnt(0)
	buffer_gl1_inv
	buffer_gl0_inv
	s_clause 0x1
	global_load_dwordx2 v[3:4], v2, s[38:39] offset:40
	global_load_dwordx2 v[7:8], v2, s[38:39]
	s_waitcnt vmcnt(1)
	v_and_b32_e32 v4, v4, v6
	v_and_b32_e32 v3, v3, v5
	v_mul_lo_u32 v4, v4, 24
	v_mul_hi_u32 v9, v3, 24
	v_mul_lo_u32 v3, v3, 24
	v_add_nc_u32_e32 v4, v9, v4
	s_waitcnt vmcnt(0)
	v_add_co_u32 v3, vcc_lo, v7, v3
	v_add_co_ci_u32_e32 v4, vcc_lo, v8, v4, vcc_lo
	global_load_dwordx2 v[3:4], v[3:4], off glc dlc
	s_waitcnt vmcnt(0)
	global_atomic_cmpswap_x2 v[8:9], v2, v[3:6], s[38:39] offset:24 glc
	s_waitcnt vmcnt(0)
	buffer_gl1_inv
	buffer_gl0_inv
	v_cmpx_ne_u64_e64 v[8:9], v[5:6]
	s_cbranch_execz .LBB6_1260
; %bb.1257:
	s_mov_b32 s7, 0
.LBB6_1258:                             ; =>This Inner Loop Header: Depth=1
	s_sleep 1
	s_clause 0x1
	global_load_dwordx2 v[3:4], v2, s[38:39] offset:40
	global_load_dwordx2 v[10:11], v2, s[38:39]
	v_mov_b32_e32 v5, v8
	v_mov_b32_e32 v6, v9
	s_waitcnt vmcnt(1)
	v_and_b32_e32 v3, v3, v5
	v_and_b32_e32 v4, v4, v6
	s_waitcnt vmcnt(0)
	v_mad_u64_u32 v[7:8], null, v3, 24, v[10:11]
	v_mov_b32_e32 v3, v8
	v_mad_u64_u32 v[3:4], null, v4, 24, v[3:4]
	v_mov_b32_e32 v8, v3
	global_load_dwordx2 v[3:4], v[7:8], off glc dlc
	s_waitcnt vmcnt(0)
	global_atomic_cmpswap_x2 v[8:9], v2, v[3:6], s[38:39] offset:24 glc
	s_waitcnt vmcnt(0)
	buffer_gl1_inv
	buffer_gl0_inv
	v_cmp_eq_u64_e32 vcc_lo, v[8:9], v[5:6]
	s_or_b32 s7, vcc_lo, s7
	s_andn2_b32 exec_lo, exec_lo, s7
	s_cbranch_execnz .LBB6_1258
; %bb.1259:
	s_or_b32 exec_lo, exec_lo, s7
.LBB6_1260:
	s_or_b32 exec_lo, exec_lo, s6
.LBB6_1261:
	s_or_b32 exec_lo, exec_lo, s5
	s_waitcnt vmcnt(0)
	v_mov_b32_e32 v2, 0
	v_readfirstlane_b32 s6, v8
	v_readfirstlane_b32 s7, v9
	s_mov_b32 s5, exec_lo
	s_clause 0x1
	global_load_dwordx2 v[10:11], v2, s[38:39] offset:40
	global_load_dwordx4 v[4:7], v2, s[38:39]
	s_waitcnt vmcnt(1)
	v_readfirstlane_b32 s8, v10
	v_readfirstlane_b32 s9, v11
	s_and_b64 s[8:9], s[6:7], s[8:9]
	s_mul_i32 s10, s9, 24
	s_mul_hi_u32 s11, s8, 24
	s_mul_i32 s12, s8, 24
	s_add_i32 s11, s11, s10
	s_waitcnt vmcnt(0)
	v_add_co_u32 v8, vcc_lo, v4, s12
	v_add_co_ci_u32_e32 v9, vcc_lo, s11, v5, vcc_lo
	s_and_saveexec_b32 s10, s4
	s_cbranch_execz .LBB6_1263
; %bb.1262:
	v_mov_b32_e32 v10, s5
	v_mov_b32_e32 v11, v2
	;; [unrolled: 1-line block ×4, first 2 shown]
	global_store_dwordx4 v[8:9], v[10:13], off offset:8
.LBB6_1263:
	s_or_b32 exec_lo, exec_lo, s10
	s_lshl_b64 s[8:9], s[8:9], 12
	v_and_or_b32 v0, 0xffffff1f, v0, 32
	v_add_co_u32 v6, vcc_lo, v6, s8
	v_add_co_ci_u32_e32 v7, vcc_lo, s9, v7, vcc_lo
	s_mov_b32 s8, 0
	v_readfirstlane_b32 s12, v6
	s_mov_b32 s11, s8
	v_add_co_u32 v6, vcc_lo, v6, v41
	s_mov_b32 s9, s8
	s_mov_b32 s10, s8
	v_mov_b32_e32 v3, v2
	v_readfirstlane_b32 s13, v7
	v_mov_b32_e32 v13, s11
	v_add_co_ci_u32_e32 v7, vcc_lo, 0, v7, vcc_lo
	v_mov_b32_e32 v12, s10
	v_mov_b32_e32 v11, s9
	;; [unrolled: 1-line block ×3, first 2 shown]
	global_store_dwordx4 v41, v[0:3], s[12:13]
	global_store_dwordx4 v41, v[10:13], s[12:13] offset:16
	global_store_dwordx4 v41, v[10:13], s[12:13] offset:32
	;; [unrolled: 1-line block ×3, first 2 shown]
	s_and_saveexec_b32 s5, s4
	s_cbranch_execz .LBB6_1271
; %bb.1264:
	v_mov_b32_e32 v10, 0
	v_mov_b32_e32 v11, s6
	v_mov_b32_e32 v12, s7
	s_clause 0x1
	global_load_dwordx2 v[13:14], v10, s[38:39] offset:32 glc dlc
	global_load_dwordx2 v[0:1], v10, s[38:39] offset:40
	s_waitcnt vmcnt(0)
	v_readfirstlane_b32 s8, v0
	v_readfirstlane_b32 s9, v1
	s_and_b64 s[8:9], s[8:9], s[6:7]
	s_mul_i32 s9, s9, 24
	s_mul_hi_u32 s10, s8, 24
	s_mul_i32 s8, s8, 24
	s_add_i32 s10, s10, s9
	v_add_co_u32 v4, vcc_lo, v4, s8
	v_add_co_ci_u32_e32 v5, vcc_lo, s10, v5, vcc_lo
	s_mov_b32 s8, exec_lo
	global_store_dwordx2 v[4:5], v[13:14], off
	s_waitcnt_vscnt null, 0x0
	global_atomic_cmpswap_x2 v[2:3], v10, v[11:14], s[38:39] offset:32 glc
	s_waitcnt vmcnt(0)
	v_cmpx_ne_u64_e64 v[2:3], v[13:14]
	s_cbranch_execz .LBB6_1267
; %bb.1265:
	s_mov_b32 s9, 0
.LBB6_1266:                             ; =>This Inner Loop Header: Depth=1
	v_mov_b32_e32 v0, s6
	v_mov_b32_e32 v1, s7
	s_sleep 1
	global_store_dwordx2 v[4:5], v[2:3], off
	s_waitcnt_vscnt null, 0x0
	global_atomic_cmpswap_x2 v[0:1], v10, v[0:3], s[38:39] offset:32 glc
	s_waitcnt vmcnt(0)
	v_cmp_eq_u64_e32 vcc_lo, v[0:1], v[2:3]
	v_mov_b32_e32 v3, v1
	v_mov_b32_e32 v2, v0
	s_or_b32 s9, vcc_lo, s9
	s_andn2_b32 exec_lo, exec_lo, s9
	s_cbranch_execnz .LBB6_1266
.LBB6_1267:
	s_or_b32 exec_lo, exec_lo, s8
	v_mov_b32_e32 v3, 0
	s_mov_b32 s9, exec_lo
	s_mov_b32 s8, exec_lo
	v_mbcnt_lo_u32_b32 v2, s9, 0
	global_load_dwordx2 v[0:1], v3, s[38:39] offset:16
	v_cmpx_eq_u32_e32 0, v2
	s_cbranch_execz .LBB6_1269
; %bb.1268:
	s_bcnt1_i32_b32 s9, s9
	v_mov_b32_e32 v2, s9
	s_waitcnt vmcnt(0)
	global_atomic_add_x2 v[0:1], v[2:3], off offset:8
.LBB6_1269:
	s_or_b32 exec_lo, exec_lo, s8
	s_waitcnt vmcnt(0)
	global_load_dwordx2 v[2:3], v[0:1], off offset:16
	s_waitcnt vmcnt(0)
	v_cmp_eq_u64_e32 vcc_lo, 0, v[2:3]
	s_cbranch_vccnz .LBB6_1271
; %bb.1270:
	global_load_dword v0, v[0:1], off offset:24
	v_mov_b32_e32 v1, 0
	s_waitcnt vmcnt(0)
	v_and_b32_e32 v4, 0x7fffff, v0
	s_waitcnt_vscnt null, 0x0
	global_store_dwordx2 v[2:3], v[0:1], off
	v_readfirstlane_b32 m0, v4
	s_sendmsg sendmsg(MSG_INTERRUPT)
.LBB6_1271:
	s_or_b32 exec_lo, exec_lo, s5
	s_branch .LBB6_1275
	.p2align	6
.LBB6_1272:                             ;   in Loop: Header=BB6_1275 Depth=1
	s_or_b32 exec_lo, exec_lo, s5
	v_readfirstlane_b32 s5, v0
	s_cmp_eq_u32 s5, 0
	s_cbranch_scc1 .LBB6_1274
; %bb.1273:                             ;   in Loop: Header=BB6_1275 Depth=1
	s_sleep 1
	s_cbranch_execnz .LBB6_1275
	s_branch .LBB6_1277
.LBB6_1274:
	s_branch .LBB6_1277
.LBB6_1275:                             ; =>This Inner Loop Header: Depth=1
	v_mov_b32_e32 v0, 1
	s_and_saveexec_b32 s5, s4
	s_cbranch_execz .LBB6_1272
; %bb.1276:                             ;   in Loop: Header=BB6_1275 Depth=1
	global_load_dword v0, v[8:9], off offset:20 glc dlc
	s_waitcnt vmcnt(0)
	buffer_gl1_inv
	buffer_gl0_inv
	v_and_b32_e32 v0, 1, v0
	s_branch .LBB6_1272
.LBB6_1277:
	global_load_dwordx2 v[2:3], v[6:7], off
	s_and_saveexec_b32 s5, s4
	s_cbranch_execz .LBB6_1281
; %bb.1278:
	v_mov_b32_e32 v8, 0
	s_clause 0x2
	global_load_dwordx2 v[0:1], v8, s[38:39] offset:40
	global_load_dwordx2 v[9:10], v8, s[38:39] offset:24 glc dlc
	global_load_dwordx2 v[6:7], v8, s[38:39]
	s_waitcnt vmcnt(2)
	v_add_co_u32 v11, vcc_lo, v0, 1
	v_add_co_ci_u32_e32 v12, vcc_lo, 0, v1, vcc_lo
	v_add_co_u32 v4, vcc_lo, v11, s6
	v_add_co_ci_u32_e32 v5, vcc_lo, s7, v12, vcc_lo
	v_cmp_eq_u64_e32 vcc_lo, 0, v[4:5]
	v_cndmask_b32_e32 v5, v5, v12, vcc_lo
	v_cndmask_b32_e32 v4, v4, v11, vcc_lo
	v_and_b32_e32 v1, v5, v1
	v_and_b32_e32 v0, v4, v0
	v_mul_lo_u32 v1, v1, 24
	v_mul_hi_u32 v11, v0, 24
	v_mul_lo_u32 v0, v0, 24
	v_add_nc_u32_e32 v1, v11, v1
	s_waitcnt vmcnt(0)
	v_add_co_u32 v0, vcc_lo, v6, v0
	v_mov_b32_e32 v6, v9
	v_add_co_ci_u32_e32 v1, vcc_lo, v7, v1, vcc_lo
	v_mov_b32_e32 v7, v10
	global_store_dwordx2 v[0:1], v[9:10], off
	s_waitcnt_vscnt null, 0x0
	global_atomic_cmpswap_x2 v[6:7], v8, v[4:7], s[38:39] offset:24 glc
	s_waitcnt vmcnt(0)
	v_cmp_ne_u64_e32 vcc_lo, v[6:7], v[9:10]
	s_and_b32 exec_lo, exec_lo, vcc_lo
	s_cbranch_execz .LBB6_1281
; %bb.1279:
	s_mov_b32 s4, 0
.LBB6_1280:                             ; =>This Inner Loop Header: Depth=1
	s_sleep 1
	global_store_dwordx2 v[0:1], v[6:7], off
	s_waitcnt_vscnt null, 0x0
	global_atomic_cmpswap_x2 v[9:10], v8, v[4:7], s[38:39] offset:24 glc
	s_waitcnt vmcnt(0)
	v_cmp_eq_u64_e32 vcc_lo, v[9:10], v[6:7]
	v_mov_b32_e32 v6, v9
	v_mov_b32_e32 v7, v10
	s_or_b32 s4, vcc_lo, s4
	s_andn2_b32 exec_lo, exec_lo, s4
	s_cbranch_execnz .LBB6_1280
.LBB6_1281:
	s_or_b32 exec_lo, exec_lo, s5
.LBB6_1282:
	v_readfirstlane_b32 s4, v42
	s_waitcnt vmcnt(0)
	v_mov_b32_e32 v0, 0
	v_mov_b32_e32 v1, 0
	v_cmp_eq_u32_e64 s4, s4, v42
	s_and_saveexec_b32 s5, s4
	s_cbranch_execz .LBB6_1288
; %bb.1283:
	v_mov_b32_e32 v4, 0
	s_mov_b32 s6, exec_lo
	global_load_dwordx2 v[7:8], v4, s[38:39] offset:24 glc dlc
	s_waitcnt vmcnt(0)
	buffer_gl1_inv
	buffer_gl0_inv
	s_clause 0x1
	global_load_dwordx2 v[0:1], v4, s[38:39] offset:40
	global_load_dwordx2 v[5:6], v4, s[38:39]
	s_waitcnt vmcnt(1)
	v_and_b32_e32 v1, v1, v8
	v_and_b32_e32 v0, v0, v7
	v_mul_lo_u32 v1, v1, 24
	v_mul_hi_u32 v9, v0, 24
	v_mul_lo_u32 v0, v0, 24
	v_add_nc_u32_e32 v1, v9, v1
	s_waitcnt vmcnt(0)
	v_add_co_u32 v0, vcc_lo, v5, v0
	v_add_co_ci_u32_e32 v1, vcc_lo, v6, v1, vcc_lo
	global_load_dwordx2 v[5:6], v[0:1], off glc dlc
	s_waitcnt vmcnt(0)
	global_atomic_cmpswap_x2 v[0:1], v4, v[5:8], s[38:39] offset:24 glc
	s_waitcnt vmcnt(0)
	buffer_gl1_inv
	buffer_gl0_inv
	v_cmpx_ne_u64_e64 v[0:1], v[7:8]
	s_cbranch_execz .LBB6_1287
; %bb.1284:
	s_mov_b32 s7, 0
.LBB6_1285:                             ; =>This Inner Loop Header: Depth=1
	s_sleep 1
	s_clause 0x1
	global_load_dwordx2 v[5:6], v4, s[38:39] offset:40
	global_load_dwordx2 v[9:10], v4, s[38:39]
	v_mov_b32_e32 v8, v1
	v_mov_b32_e32 v7, v0
	s_waitcnt vmcnt(1)
	v_and_b32_e32 v0, v5, v7
	v_and_b32_e32 v5, v6, v8
	s_waitcnt vmcnt(0)
	v_mad_u64_u32 v[0:1], null, v0, 24, v[9:10]
	v_mad_u64_u32 v[5:6], null, v5, 24, v[1:2]
	v_mov_b32_e32 v1, v5
	global_load_dwordx2 v[5:6], v[0:1], off glc dlc
	s_waitcnt vmcnt(0)
	global_atomic_cmpswap_x2 v[0:1], v4, v[5:8], s[38:39] offset:24 glc
	s_waitcnt vmcnt(0)
	buffer_gl1_inv
	buffer_gl0_inv
	v_cmp_eq_u64_e32 vcc_lo, v[0:1], v[7:8]
	s_or_b32 s7, vcc_lo, s7
	s_andn2_b32 exec_lo, exec_lo, s7
	s_cbranch_execnz .LBB6_1285
; %bb.1286:
	s_or_b32 exec_lo, exec_lo, s7
.LBB6_1287:
	s_or_b32 exec_lo, exec_lo, s6
.LBB6_1288:
	s_or_b32 exec_lo, exec_lo, s5
	v_mov_b32_e32 v5, 0
	v_readfirstlane_b32 s6, v0
	v_readfirstlane_b32 s7, v1
	s_mov_b32 s5, exec_lo
	s_clause 0x1
	global_load_dwordx2 v[10:11], v5, s[38:39] offset:40
	global_load_dwordx4 v[6:9], v5, s[38:39]
	s_waitcnt vmcnt(1)
	v_readfirstlane_b32 s8, v10
	v_readfirstlane_b32 s9, v11
	s_and_b64 s[8:9], s[6:7], s[8:9]
	s_mul_i32 s10, s9, 24
	s_mul_hi_u32 s11, s8, 24
	s_mul_i32 s12, s8, 24
	s_add_i32 s11, s11, s10
	s_waitcnt vmcnt(0)
	v_add_co_u32 v10, vcc_lo, v6, s12
	v_add_co_ci_u32_e32 v11, vcc_lo, s11, v7, vcc_lo
	s_and_saveexec_b32 s10, s4
	s_cbranch_execz .LBB6_1290
; %bb.1289:
	v_mov_b32_e32 v4, s5
	v_mov_b32_e32 v13, v5
	;; [unrolled: 1-line block ×5, first 2 shown]
	global_store_dwordx4 v[10:11], v[12:15], off offset:8
.LBB6_1290:
	s_or_b32 exec_lo, exec_lo, s10
	s_lshl_b64 s[8:9], s[8:9], 12
	v_and_or_b32 v2, 0xffffff1d, v2, 34
	v_add_co_u32 v0, vcc_lo, v8, s8
	v_add_co_ci_u32_e32 v1, vcc_lo, s9, v9, vcc_lo
	s_mov_b32 s8, 0
	v_mov_b32_e32 v4, 10
	s_mov_b32 s11, s8
	s_mov_b32 s9, s8
	;; [unrolled: 1-line block ×3, first 2 shown]
	v_readfirstlane_b32 s12, v0
	v_readfirstlane_b32 s13, v1
	v_mov_b32_e32 v15, s11
	v_mov_b32_e32 v14, s10
	;; [unrolled: 1-line block ×4, first 2 shown]
	global_store_dwordx4 v41, v[2:5], s[12:13]
	global_store_dwordx4 v41, v[12:15], s[12:13] offset:16
	global_store_dwordx4 v41, v[12:15], s[12:13] offset:32
	;; [unrolled: 1-line block ×3, first 2 shown]
	s_and_saveexec_b32 s5, s4
	s_cbranch_execz .LBB6_1298
; %bb.1291:
	v_mov_b32_e32 v8, 0
	v_mov_b32_e32 v12, s6
	;; [unrolled: 1-line block ×3, first 2 shown]
	s_clause 0x1
	global_load_dwordx2 v[14:15], v8, s[38:39] offset:32 glc dlc
	global_load_dwordx2 v[0:1], v8, s[38:39] offset:40
	s_waitcnt vmcnt(0)
	v_readfirstlane_b32 s8, v0
	v_readfirstlane_b32 s9, v1
	s_and_b64 s[8:9], s[8:9], s[6:7]
	s_mul_i32 s9, s9, 24
	s_mul_hi_u32 s10, s8, 24
	s_mul_i32 s8, s8, 24
	s_add_i32 s10, s10, s9
	v_add_co_u32 v4, vcc_lo, v6, s8
	v_add_co_ci_u32_e32 v5, vcc_lo, s10, v7, vcc_lo
	s_mov_b32 s8, exec_lo
	global_store_dwordx2 v[4:5], v[14:15], off
	s_waitcnt_vscnt null, 0x0
	global_atomic_cmpswap_x2 v[2:3], v8, v[12:15], s[38:39] offset:32 glc
	s_waitcnt vmcnt(0)
	v_cmpx_ne_u64_e64 v[2:3], v[14:15]
	s_cbranch_execz .LBB6_1294
; %bb.1292:
	s_mov_b32 s9, 0
.LBB6_1293:                             ; =>This Inner Loop Header: Depth=1
	v_mov_b32_e32 v0, s6
	v_mov_b32_e32 v1, s7
	s_sleep 1
	global_store_dwordx2 v[4:5], v[2:3], off
	s_waitcnt_vscnt null, 0x0
	global_atomic_cmpswap_x2 v[0:1], v8, v[0:3], s[38:39] offset:32 glc
	s_waitcnt vmcnt(0)
	v_cmp_eq_u64_e32 vcc_lo, v[0:1], v[2:3]
	v_mov_b32_e32 v3, v1
	v_mov_b32_e32 v2, v0
	s_or_b32 s9, vcc_lo, s9
	s_andn2_b32 exec_lo, exec_lo, s9
	s_cbranch_execnz .LBB6_1293
.LBB6_1294:
	s_or_b32 exec_lo, exec_lo, s8
	v_mov_b32_e32 v3, 0
	s_mov_b32 s9, exec_lo
	s_mov_b32 s8, exec_lo
	v_mbcnt_lo_u32_b32 v2, s9, 0
	global_load_dwordx2 v[0:1], v3, s[38:39] offset:16
	v_cmpx_eq_u32_e32 0, v2
	s_cbranch_execz .LBB6_1296
; %bb.1295:
	s_bcnt1_i32_b32 s9, s9
	v_mov_b32_e32 v2, s9
	s_waitcnt vmcnt(0)
	global_atomic_add_x2 v[0:1], v[2:3], off offset:8
.LBB6_1296:
	s_or_b32 exec_lo, exec_lo, s8
	s_waitcnt vmcnt(0)
	global_load_dwordx2 v[2:3], v[0:1], off offset:16
	s_waitcnt vmcnt(0)
	v_cmp_eq_u64_e32 vcc_lo, 0, v[2:3]
	s_cbranch_vccnz .LBB6_1298
; %bb.1297:
	global_load_dword v0, v[0:1], off offset:24
	v_mov_b32_e32 v1, 0
	s_waitcnt vmcnt(0)
	v_and_b32_e32 v4, 0x7fffff, v0
	s_waitcnt_vscnt null, 0x0
	global_store_dwordx2 v[2:3], v[0:1], off
	v_readfirstlane_b32 m0, v4
	s_sendmsg sendmsg(MSG_INTERRUPT)
.LBB6_1298:
	s_or_b32 exec_lo, exec_lo, s5
	s_branch .LBB6_1302
	.p2align	6
.LBB6_1299:                             ;   in Loop: Header=BB6_1302 Depth=1
	s_or_b32 exec_lo, exec_lo, s5
	v_readfirstlane_b32 s5, v0
	s_cmp_eq_u32 s5, 0
	s_cbranch_scc1 .LBB6_1301
; %bb.1300:                             ;   in Loop: Header=BB6_1302 Depth=1
	s_sleep 1
	s_cbranch_execnz .LBB6_1302
	s_branch .LBB6_1304
	.p2align	6
.LBB6_1301:
	s_branch .LBB6_1304
.LBB6_1302:                             ; =>This Inner Loop Header: Depth=1
	v_mov_b32_e32 v0, 1
	s_and_saveexec_b32 s5, s4
	s_cbranch_execz .LBB6_1299
; %bb.1303:                             ;   in Loop: Header=BB6_1302 Depth=1
	global_load_dword v0, v[10:11], off offset:20 glc dlc
	s_waitcnt vmcnt(0)
	buffer_gl1_inv
	buffer_gl0_inv
	v_and_b32_e32 v0, 1, v0
	s_branch .LBB6_1299
.LBB6_1304:
	s_and_saveexec_b32 s5, s4
	s_cbranch_execz .LBB6_1308
; %bb.1305:
	v_mov_b32_e32 v6, 0
	s_clause 0x2
	global_load_dwordx2 v[2:3], v6, s[38:39] offset:40
	global_load_dwordx2 v[7:8], v6, s[38:39] offset:24 glc dlc
	global_load_dwordx2 v[4:5], v6, s[38:39]
	s_waitcnt vmcnt(2)
	v_add_co_u32 v9, vcc_lo, v2, 1
	v_add_co_ci_u32_e32 v10, vcc_lo, 0, v3, vcc_lo
	v_add_co_u32 v0, vcc_lo, v9, s6
	v_add_co_ci_u32_e32 v1, vcc_lo, s7, v10, vcc_lo
	v_cmp_eq_u64_e32 vcc_lo, 0, v[0:1]
	v_cndmask_b32_e32 v1, v1, v10, vcc_lo
	v_cndmask_b32_e32 v0, v0, v9, vcc_lo
	v_and_b32_e32 v3, v1, v3
	v_and_b32_e32 v2, v0, v2
	v_mul_lo_u32 v3, v3, 24
	v_mul_hi_u32 v9, v2, 24
	v_mul_lo_u32 v2, v2, 24
	v_add_nc_u32_e32 v3, v9, v3
	s_waitcnt vmcnt(0)
	v_add_co_u32 v4, vcc_lo, v4, v2
	v_mov_b32_e32 v2, v7
	v_add_co_ci_u32_e32 v5, vcc_lo, v5, v3, vcc_lo
	v_mov_b32_e32 v3, v8
	global_store_dwordx2 v[4:5], v[7:8], off
	s_waitcnt_vscnt null, 0x0
	global_atomic_cmpswap_x2 v[2:3], v6, v[0:3], s[38:39] offset:24 glc
	s_waitcnt vmcnt(0)
	v_cmp_ne_u64_e32 vcc_lo, v[2:3], v[7:8]
	s_and_b32 exec_lo, exec_lo, vcc_lo
	s_cbranch_execz .LBB6_1308
; %bb.1306:
	s_mov_b32 s4, 0
.LBB6_1307:                             ; =>This Inner Loop Header: Depth=1
	s_sleep 1
	global_store_dwordx2 v[4:5], v[2:3], off
	s_waitcnt_vscnt null, 0x0
	global_atomic_cmpswap_x2 v[7:8], v6, v[0:3], s[38:39] offset:24 glc
	s_waitcnt vmcnt(0)
	v_cmp_eq_u64_e32 vcc_lo, v[7:8], v[2:3]
	v_mov_b32_e32 v2, v7
	v_mov_b32_e32 v3, v8
	s_or_b32 s4, vcc_lo, s4
	s_andn2_b32 exec_lo, exec_lo, s4
	s_cbranch_execnz .LBB6_1307
.LBB6_1308:
	s_or_b32 exec_lo, exec_lo, s5
	v_readfirstlane_b32 s4, v42
	v_mov_b32_e32 v6, 0
	v_mov_b32_e32 v7, 0
	v_cmp_eq_u32_e64 s4, s4, v42
	s_and_saveexec_b32 s5, s4
	s_cbranch_execz .LBB6_1314
; %bb.1309:
	v_mov_b32_e32 v0, 0
	s_mov_b32 s6, exec_lo
	global_load_dwordx2 v[3:4], v0, s[38:39] offset:24 glc dlc
	s_waitcnt vmcnt(0)
	buffer_gl1_inv
	buffer_gl0_inv
	s_clause 0x1
	global_load_dwordx2 v[1:2], v0, s[38:39] offset:40
	global_load_dwordx2 v[5:6], v0, s[38:39]
	s_waitcnt vmcnt(1)
	v_and_b32_e32 v2, v2, v4
	v_and_b32_e32 v1, v1, v3
	v_mul_lo_u32 v2, v2, 24
	v_mul_hi_u32 v7, v1, 24
	v_mul_lo_u32 v1, v1, 24
	v_add_nc_u32_e32 v2, v7, v2
	s_waitcnt vmcnt(0)
	v_add_co_u32 v1, vcc_lo, v5, v1
	v_add_co_ci_u32_e32 v2, vcc_lo, v6, v2, vcc_lo
	global_load_dwordx2 v[1:2], v[1:2], off glc dlc
	s_waitcnt vmcnt(0)
	global_atomic_cmpswap_x2 v[6:7], v0, v[1:4], s[38:39] offset:24 glc
	s_waitcnt vmcnt(0)
	buffer_gl1_inv
	buffer_gl0_inv
	v_cmpx_ne_u64_e64 v[6:7], v[3:4]
	s_cbranch_execz .LBB6_1313
; %bb.1310:
	s_mov_b32 s7, 0
.LBB6_1311:                             ; =>This Inner Loop Header: Depth=1
	s_sleep 1
	s_clause 0x1
	global_load_dwordx2 v[1:2], v0, s[38:39] offset:40
	global_load_dwordx2 v[8:9], v0, s[38:39]
	v_mov_b32_e32 v3, v6
	v_mov_b32_e32 v4, v7
	s_waitcnt vmcnt(1)
	v_and_b32_e32 v1, v1, v3
	v_and_b32_e32 v2, v2, v4
	s_waitcnt vmcnt(0)
	v_mad_u64_u32 v[5:6], null, v1, 24, v[8:9]
	v_mov_b32_e32 v1, v6
	v_mad_u64_u32 v[1:2], null, v2, 24, v[1:2]
	v_mov_b32_e32 v6, v1
	global_load_dwordx2 v[1:2], v[5:6], off glc dlc
	s_waitcnt vmcnt(0)
	global_atomic_cmpswap_x2 v[6:7], v0, v[1:4], s[38:39] offset:24 glc
	s_waitcnt vmcnt(0)
	buffer_gl1_inv
	buffer_gl0_inv
	v_cmp_eq_u64_e32 vcc_lo, v[6:7], v[3:4]
	s_or_b32 s7, vcc_lo, s7
	s_andn2_b32 exec_lo, exec_lo, s7
	s_cbranch_execnz .LBB6_1311
; %bb.1312:
	s_or_b32 exec_lo, exec_lo, s7
.LBB6_1313:
	s_or_b32 exec_lo, exec_lo, s6
.LBB6_1314:
	s_or_b32 exec_lo, exec_lo, s5
	v_mov_b32_e32 v5, 0
	v_readfirstlane_b32 s6, v6
	v_readfirstlane_b32 s7, v7
	s_mov_b32 s5, exec_lo
	s_clause 0x1
	global_load_dwordx2 v[8:9], v5, s[38:39] offset:40
	global_load_dwordx4 v[0:3], v5, s[38:39]
	s_waitcnt vmcnt(1)
	v_readfirstlane_b32 s8, v8
	v_readfirstlane_b32 s9, v9
	s_and_b64 s[8:9], s[6:7], s[8:9]
	s_mul_i32 s10, s9, 24
	s_mul_hi_u32 s11, s8, 24
	s_mul_i32 s12, s8, 24
	s_add_i32 s11, s11, s10
	s_waitcnt vmcnt(0)
	v_add_co_u32 v8, vcc_lo, v0, s12
	v_add_co_ci_u32_e32 v9, vcc_lo, s11, v1, vcc_lo
	s_and_saveexec_b32 s10, s4
	s_cbranch_execz .LBB6_1316
; %bb.1315:
	v_mov_b32_e32 v4, s5
	v_mov_b32_e32 v6, 2
	v_mov_b32_e32 v7, 1
	global_store_dwordx4 v[8:9], v[4:7], off offset:8
.LBB6_1316:
	s_or_b32 exec_lo, exec_lo, s10
	s_lshl_b64 s[8:9], s[8:9], 12
	v_mov_b32_e32 v4, 33
	v_add_co_u32 v2, vcc_lo, v2, s8
	v_add_co_ci_u32_e32 v3, vcc_lo, s9, v3, vcc_lo
	s_mov_b32 s8, 0
	v_add_co_u32 v10, vcc_lo, v2, v41
	s_mov_b32 s11, s8
	s_mov_b32 s9, s8
	;; [unrolled: 1-line block ×3, first 2 shown]
	v_mov_b32_e32 v6, v5
	v_mov_b32_e32 v7, v5
	v_readfirstlane_b32 s12, v2
	v_readfirstlane_b32 s13, v3
	v_mov_b32_e32 v15, s11
	v_add_co_ci_u32_e32 v11, vcc_lo, 0, v3, vcc_lo
	v_mov_b32_e32 v14, s10
	v_mov_b32_e32 v13, s9
	;; [unrolled: 1-line block ×3, first 2 shown]
	global_store_dwordx4 v41, v[4:7], s[12:13]
	global_store_dwordx4 v41, v[12:15], s[12:13] offset:16
	global_store_dwordx4 v41, v[12:15], s[12:13] offset:32
	;; [unrolled: 1-line block ×3, first 2 shown]
	s_and_saveexec_b32 s5, s4
	s_cbranch_execz .LBB6_1324
; %bb.1317:
	v_mov_b32_e32 v6, 0
	v_mov_b32_e32 v12, s6
	;; [unrolled: 1-line block ×3, first 2 shown]
	s_clause 0x1
	global_load_dwordx2 v[14:15], v6, s[38:39] offset:32 glc dlc
	global_load_dwordx2 v[2:3], v6, s[38:39] offset:40
	s_waitcnt vmcnt(0)
	v_readfirstlane_b32 s8, v2
	v_readfirstlane_b32 s9, v3
	s_and_b64 s[8:9], s[8:9], s[6:7]
	s_mul_i32 s9, s9, 24
	s_mul_hi_u32 s10, s8, 24
	s_mul_i32 s8, s8, 24
	s_add_i32 s10, s10, s9
	v_add_co_u32 v4, vcc_lo, v0, s8
	v_add_co_ci_u32_e32 v5, vcc_lo, s10, v1, vcc_lo
	s_mov_b32 s8, exec_lo
	global_store_dwordx2 v[4:5], v[14:15], off
	s_waitcnt_vscnt null, 0x0
	global_atomic_cmpswap_x2 v[2:3], v6, v[12:15], s[38:39] offset:32 glc
	s_waitcnt vmcnt(0)
	v_cmpx_ne_u64_e64 v[2:3], v[14:15]
	s_cbranch_execz .LBB6_1320
; %bb.1318:
	s_mov_b32 s9, 0
.LBB6_1319:                             ; =>This Inner Loop Header: Depth=1
	v_mov_b32_e32 v0, s6
	v_mov_b32_e32 v1, s7
	s_sleep 1
	global_store_dwordx2 v[4:5], v[2:3], off
	s_waitcnt_vscnt null, 0x0
	global_atomic_cmpswap_x2 v[0:1], v6, v[0:3], s[38:39] offset:32 glc
	s_waitcnt vmcnt(0)
	v_cmp_eq_u64_e32 vcc_lo, v[0:1], v[2:3]
	v_mov_b32_e32 v3, v1
	v_mov_b32_e32 v2, v0
	s_or_b32 s9, vcc_lo, s9
	s_andn2_b32 exec_lo, exec_lo, s9
	s_cbranch_execnz .LBB6_1319
.LBB6_1320:
	s_or_b32 exec_lo, exec_lo, s8
	v_mov_b32_e32 v3, 0
	s_mov_b32 s9, exec_lo
	s_mov_b32 s8, exec_lo
	v_mbcnt_lo_u32_b32 v2, s9, 0
	global_load_dwordx2 v[0:1], v3, s[38:39] offset:16
	v_cmpx_eq_u32_e32 0, v2
	s_cbranch_execz .LBB6_1322
; %bb.1321:
	s_bcnt1_i32_b32 s9, s9
	v_mov_b32_e32 v2, s9
	s_waitcnt vmcnt(0)
	global_atomic_add_x2 v[0:1], v[2:3], off offset:8
.LBB6_1322:
	s_or_b32 exec_lo, exec_lo, s8
	s_waitcnt vmcnt(0)
	global_load_dwordx2 v[2:3], v[0:1], off offset:16
	s_waitcnt vmcnt(0)
	v_cmp_eq_u64_e32 vcc_lo, 0, v[2:3]
	s_cbranch_vccnz .LBB6_1324
; %bb.1323:
	global_load_dword v0, v[0:1], off offset:24
	v_mov_b32_e32 v1, 0
	s_waitcnt vmcnt(0)
	v_and_b32_e32 v4, 0x7fffff, v0
	s_waitcnt_vscnt null, 0x0
	global_store_dwordx2 v[2:3], v[0:1], off
	v_readfirstlane_b32 m0, v4
	s_sendmsg sendmsg(MSG_INTERRUPT)
.LBB6_1324:
	s_or_b32 exec_lo, exec_lo, s5
	s_branch .LBB6_1328
	.p2align	6
.LBB6_1325:                             ;   in Loop: Header=BB6_1328 Depth=1
	s_or_b32 exec_lo, exec_lo, s5
	v_readfirstlane_b32 s5, v0
	s_cmp_eq_u32 s5, 0
	s_cbranch_scc1 .LBB6_1327
; %bb.1326:                             ;   in Loop: Header=BB6_1328 Depth=1
	s_sleep 1
	s_cbranch_execnz .LBB6_1328
	s_branch .LBB6_1330
	.p2align	6
.LBB6_1327:
	s_branch .LBB6_1330
.LBB6_1328:                             ; =>This Inner Loop Header: Depth=1
	v_mov_b32_e32 v0, 1
	s_and_saveexec_b32 s5, s4
	s_cbranch_execz .LBB6_1325
; %bb.1329:                             ;   in Loop: Header=BB6_1328 Depth=1
	global_load_dword v0, v[8:9], off offset:20 glc dlc
	s_waitcnt vmcnt(0)
	buffer_gl1_inv
	buffer_gl0_inv
	v_and_b32_e32 v0, 1, v0
	s_branch .LBB6_1325
.LBB6_1330:
	global_load_dwordx2 v[4:5], v[10:11], off
	s_and_saveexec_b32 s5, s4
	s_cbranch_execz .LBB6_1334
; %bb.1331:
	v_mov_b32_e32 v8, 0
	s_clause 0x2
	global_load_dwordx2 v[2:3], v8, s[38:39] offset:40
	global_load_dwordx2 v[9:10], v8, s[38:39] offset:24 glc dlc
	global_load_dwordx2 v[6:7], v8, s[38:39]
	s_waitcnt vmcnt(2)
	v_add_co_u32 v11, vcc_lo, v2, 1
	v_add_co_ci_u32_e32 v12, vcc_lo, 0, v3, vcc_lo
	v_add_co_u32 v0, vcc_lo, v11, s6
	v_add_co_ci_u32_e32 v1, vcc_lo, s7, v12, vcc_lo
	v_cmp_eq_u64_e32 vcc_lo, 0, v[0:1]
	v_cndmask_b32_e32 v1, v1, v12, vcc_lo
	v_cndmask_b32_e32 v0, v0, v11, vcc_lo
	v_and_b32_e32 v3, v1, v3
	v_and_b32_e32 v2, v0, v2
	v_mul_lo_u32 v3, v3, 24
	v_mul_hi_u32 v11, v2, 24
	v_mul_lo_u32 v2, v2, 24
	v_add_nc_u32_e32 v3, v11, v3
	s_waitcnt vmcnt(0)
	v_add_co_u32 v6, vcc_lo, v6, v2
	v_mov_b32_e32 v2, v9
	v_add_co_ci_u32_e32 v7, vcc_lo, v7, v3, vcc_lo
	v_mov_b32_e32 v3, v10
	global_store_dwordx2 v[6:7], v[9:10], off
	s_waitcnt_vscnt null, 0x0
	global_atomic_cmpswap_x2 v[2:3], v8, v[0:3], s[38:39] offset:24 glc
	s_waitcnt vmcnt(0)
	v_cmp_ne_u64_e32 vcc_lo, v[2:3], v[9:10]
	s_and_b32 exec_lo, exec_lo, vcc_lo
	s_cbranch_execz .LBB6_1334
; %bb.1332:
	s_mov_b32 s4, 0
.LBB6_1333:                             ; =>This Inner Loop Header: Depth=1
	s_sleep 1
	global_store_dwordx2 v[6:7], v[2:3], off
	s_waitcnt_vscnt null, 0x0
	global_atomic_cmpswap_x2 v[9:10], v8, v[0:3], s[38:39] offset:24 glc
	s_waitcnt vmcnt(0)
	v_cmp_eq_u64_e32 vcc_lo, v[9:10], v[2:3]
	v_mov_b32_e32 v2, v9
	v_mov_b32_e32 v3, v10
	s_or_b32 s4, vcc_lo, s4
	s_andn2_b32 exec_lo, exec_lo, s4
	s_cbranch_execnz .LBB6_1333
.LBB6_1334:
	s_or_b32 exec_lo, exec_lo, s5
	s_and_b32 vcc_lo, exec_lo, s16
	s_cbranch_vccz .LBB6_1413
; %bb.1335:
	s_waitcnt vmcnt(0)
	v_and_b32_e32 v28, 2, v4
	v_mov_b32_e32 v7, 0
	v_and_b32_e32 v0, -3, v4
	v_mov_b32_e32 v1, v5
	v_mov_b32_e32 v8, 2
	;; [unrolled: 1-line block ×3, first 2 shown]
	s_mov_b64 s[8:9], 3
	s_getpc_b64 s[6:7]
	s_add_u32 s6, s6, .str.8@rel32@lo+4
	s_addc_u32 s7, s7, .str.8@rel32@hi+12
	s_branch .LBB6_1337
.LBB6_1336:                             ;   in Loop: Header=BB6_1337 Depth=1
	s_or_b32 exec_lo, exec_lo, s5
	s_sub_u32 s8, s8, s10
	s_subb_u32 s9, s9, s11
	s_add_u32 s6, s6, s10
	s_addc_u32 s7, s7, s11
	s_cmp_lg_u64 s[8:9], 0
	s_cbranch_scc0 .LBB6_1412
.LBB6_1337:                             ; =>This Loop Header: Depth=1
                                        ;     Child Loop BB6_1346 Depth 2
                                        ;     Child Loop BB6_1342 Depth 2
                                        ;     Child Loop BB6_1354 Depth 2
                                        ;     Child Loop BB6_1361 Depth 2
                                        ;     Child Loop BB6_1368 Depth 2
                                        ;     Child Loop BB6_1375 Depth 2
                                        ;     Child Loop BB6_1382 Depth 2
                                        ;     Child Loop BB6_1389 Depth 2
                                        ;     Child Loop BB6_1397 Depth 2
                                        ;     Child Loop BB6_1406 Depth 2
                                        ;     Child Loop BB6_1411 Depth 2
	v_cmp_lt_u64_e64 s4, s[8:9], 56
	v_cmp_gt_u64_e64 s5, s[8:9], 7
                                        ; implicit-def: $vgpr2_vgpr3
                                        ; implicit-def: $sgpr16
	s_and_b32 s4, s4, exec_lo
	s_cselect_b32 s11, s9, 0
	s_cselect_b32 s10, s8, 56
	s_and_b32 vcc_lo, exec_lo, s5
	s_mov_b32 s4, -1
	s_cbranch_vccz .LBB6_1344
; %bb.1338:                             ;   in Loop: Header=BB6_1337 Depth=1
	s_andn2_b32 vcc_lo, exec_lo, s4
	s_mov_b64 s[4:5], s[6:7]
	s_cbranch_vccz .LBB6_1348
.LBB6_1339:                             ;   in Loop: Header=BB6_1337 Depth=1
	s_cmp_gt_u32 s16, 7
	s_cbranch_scc1 .LBB6_1349
.LBB6_1340:                             ;   in Loop: Header=BB6_1337 Depth=1
	v_mov_b32_e32 v10, 0
	v_mov_b32_e32 v11, 0
	s_cmp_eq_u32 s16, 0
	s_cbranch_scc1 .LBB6_1343
; %bb.1341:                             ;   in Loop: Header=BB6_1337 Depth=1
	s_mov_b64 s[12:13], 0
	s_mov_b64 s[14:15], 0
.LBB6_1342:                             ;   Parent Loop BB6_1337 Depth=1
                                        ; =>  This Inner Loop Header: Depth=2
	s_add_u32 s18, s4, s14
	s_addc_u32 s19, s5, s15
	s_add_u32 s14, s14, 1
	global_load_ubyte v6, v7, s[18:19]
	s_addc_u32 s15, s15, 0
	s_waitcnt vmcnt(0)
	v_and_b32_e32 v6, 0xffff, v6
	v_lshlrev_b64 v[12:13], s12, v[6:7]
	s_add_u32 s12, s12, 8
	s_addc_u32 s13, s13, 0
	s_cmp_lg_u32 s16, s14
	v_or_b32_e32 v10, v12, v10
	v_or_b32_e32 v11, v13, v11
	s_cbranch_scc1 .LBB6_1342
.LBB6_1343:                             ;   in Loop: Header=BB6_1337 Depth=1
	s_mov_b32 s17, 0
	s_cbranch_execz .LBB6_1350
	s_branch .LBB6_1351
.LBB6_1344:                             ;   in Loop: Header=BB6_1337 Depth=1
	s_waitcnt vmcnt(0)
	v_mov_b32_e32 v2, 0
	v_mov_b32_e32 v3, 0
	s_cmp_eq_u64 s[8:9], 0
	s_mov_b64 s[4:5], 0
	s_cbranch_scc1 .LBB6_1347
; %bb.1345:                             ;   in Loop: Header=BB6_1337 Depth=1
	v_mov_b32_e32 v2, 0
	v_mov_b32_e32 v3, 0
	s_lshl_b64 s[12:13], s[10:11], 3
	s_mov_b64 s[14:15], s[6:7]
.LBB6_1346:                             ;   Parent Loop BB6_1337 Depth=1
                                        ; =>  This Inner Loop Header: Depth=2
	global_load_ubyte v6, v7, s[14:15]
	s_waitcnt vmcnt(0)
	v_and_b32_e32 v6, 0xffff, v6
	v_lshlrev_b64 v[10:11], s4, v[6:7]
	s_add_u32 s4, s4, 8
	s_addc_u32 s5, s5, 0
	s_add_u32 s14, s14, 1
	s_addc_u32 s15, s15, 0
	s_cmp_lg_u32 s12, s4
	v_or_b32_e32 v2, v10, v2
	v_or_b32_e32 v3, v11, v3
	s_cbranch_scc1 .LBB6_1346
.LBB6_1347:                             ;   in Loop: Header=BB6_1337 Depth=1
	s_mov_b32 s16, 0
	s_mov_b64 s[4:5], s[6:7]
	s_cbranch_execnz .LBB6_1339
.LBB6_1348:                             ;   in Loop: Header=BB6_1337 Depth=1
	global_load_dwordx2 v[2:3], v7, s[6:7]
	s_add_i32 s16, s10, -8
	s_add_u32 s4, s6, 8
	s_addc_u32 s5, s7, 0
	s_cmp_gt_u32 s16, 7
	s_cbranch_scc0 .LBB6_1340
.LBB6_1349:                             ;   in Loop: Header=BB6_1337 Depth=1
                                        ; implicit-def: $vgpr10_vgpr11
                                        ; implicit-def: $sgpr17
.LBB6_1350:                             ;   in Loop: Header=BB6_1337 Depth=1
	global_load_dwordx2 v[10:11], v7, s[4:5]
	s_add_i32 s17, s16, -8
	s_add_u32 s4, s4, 8
	s_addc_u32 s5, s5, 0
.LBB6_1351:                             ;   in Loop: Header=BB6_1337 Depth=1
	s_cmp_gt_u32 s17, 7
	s_cbranch_scc1 .LBB6_1356
; %bb.1352:                             ;   in Loop: Header=BB6_1337 Depth=1
	v_mov_b32_e32 v12, 0
	v_mov_b32_e32 v13, 0
	s_cmp_eq_u32 s17, 0
	s_cbranch_scc1 .LBB6_1355
; %bb.1353:                             ;   in Loop: Header=BB6_1337 Depth=1
	s_mov_b64 s[12:13], 0
	s_mov_b64 s[14:15], 0
.LBB6_1354:                             ;   Parent Loop BB6_1337 Depth=1
                                        ; =>  This Inner Loop Header: Depth=2
	s_add_u32 s18, s4, s14
	s_addc_u32 s19, s5, s15
	s_add_u32 s14, s14, 1
	global_load_ubyte v6, v7, s[18:19]
	s_addc_u32 s15, s15, 0
	s_waitcnt vmcnt(0)
	v_and_b32_e32 v6, 0xffff, v6
	v_lshlrev_b64 v[14:15], s12, v[6:7]
	s_add_u32 s12, s12, 8
	s_addc_u32 s13, s13, 0
	s_cmp_lg_u32 s17, s14
	v_or_b32_e32 v12, v14, v12
	v_or_b32_e32 v13, v15, v13
	s_cbranch_scc1 .LBB6_1354
.LBB6_1355:                             ;   in Loop: Header=BB6_1337 Depth=1
	s_mov_b32 s16, 0
	s_cbranch_execz .LBB6_1357
	s_branch .LBB6_1358
.LBB6_1356:                             ;   in Loop: Header=BB6_1337 Depth=1
                                        ; implicit-def: $sgpr16
.LBB6_1357:                             ;   in Loop: Header=BB6_1337 Depth=1
	global_load_dwordx2 v[12:13], v7, s[4:5]
	s_add_i32 s16, s17, -8
	s_add_u32 s4, s4, 8
	s_addc_u32 s5, s5, 0
.LBB6_1358:                             ;   in Loop: Header=BB6_1337 Depth=1
	s_cmp_gt_u32 s16, 7
	s_cbranch_scc1 .LBB6_1363
; %bb.1359:                             ;   in Loop: Header=BB6_1337 Depth=1
	v_mov_b32_e32 v14, 0
	v_mov_b32_e32 v15, 0
	s_cmp_eq_u32 s16, 0
	s_cbranch_scc1 .LBB6_1362
; %bb.1360:                             ;   in Loop: Header=BB6_1337 Depth=1
	s_mov_b64 s[12:13], 0
	s_mov_b64 s[14:15], 0
.LBB6_1361:                             ;   Parent Loop BB6_1337 Depth=1
                                        ; =>  This Inner Loop Header: Depth=2
	s_add_u32 s18, s4, s14
	s_addc_u32 s19, s5, s15
	s_add_u32 s14, s14, 1
	global_load_ubyte v6, v7, s[18:19]
	s_addc_u32 s15, s15, 0
	s_waitcnt vmcnt(0)
	v_and_b32_e32 v6, 0xffff, v6
	v_lshlrev_b64 v[16:17], s12, v[6:7]
	s_add_u32 s12, s12, 8
	s_addc_u32 s13, s13, 0
	s_cmp_lg_u32 s16, s14
	v_or_b32_e32 v14, v16, v14
	v_or_b32_e32 v15, v17, v15
	s_cbranch_scc1 .LBB6_1361
.LBB6_1362:                             ;   in Loop: Header=BB6_1337 Depth=1
	s_mov_b32 s17, 0
	s_cbranch_execz .LBB6_1364
	s_branch .LBB6_1365
.LBB6_1363:                             ;   in Loop: Header=BB6_1337 Depth=1
                                        ; implicit-def: $vgpr14_vgpr15
                                        ; implicit-def: $sgpr17
.LBB6_1364:                             ;   in Loop: Header=BB6_1337 Depth=1
	global_load_dwordx2 v[14:15], v7, s[4:5]
	s_add_i32 s17, s16, -8
	s_add_u32 s4, s4, 8
	s_addc_u32 s5, s5, 0
.LBB6_1365:                             ;   in Loop: Header=BB6_1337 Depth=1
	s_cmp_gt_u32 s17, 7
	s_cbranch_scc1 .LBB6_1370
; %bb.1366:                             ;   in Loop: Header=BB6_1337 Depth=1
	v_mov_b32_e32 v16, 0
	v_mov_b32_e32 v17, 0
	s_cmp_eq_u32 s17, 0
	s_cbranch_scc1 .LBB6_1369
; %bb.1367:                             ;   in Loop: Header=BB6_1337 Depth=1
	s_mov_b64 s[12:13], 0
	s_mov_b64 s[14:15], 0
.LBB6_1368:                             ;   Parent Loop BB6_1337 Depth=1
                                        ; =>  This Inner Loop Header: Depth=2
	s_add_u32 s18, s4, s14
	s_addc_u32 s19, s5, s15
	s_add_u32 s14, s14, 1
	global_load_ubyte v6, v7, s[18:19]
	s_addc_u32 s15, s15, 0
	s_waitcnt vmcnt(0)
	v_and_b32_e32 v6, 0xffff, v6
	v_lshlrev_b64 v[18:19], s12, v[6:7]
	s_add_u32 s12, s12, 8
	s_addc_u32 s13, s13, 0
	s_cmp_lg_u32 s17, s14
	v_or_b32_e32 v16, v18, v16
	v_or_b32_e32 v17, v19, v17
	s_cbranch_scc1 .LBB6_1368
.LBB6_1369:                             ;   in Loop: Header=BB6_1337 Depth=1
	s_mov_b32 s16, 0
	s_cbranch_execz .LBB6_1371
	s_branch .LBB6_1372
.LBB6_1370:                             ;   in Loop: Header=BB6_1337 Depth=1
                                        ; implicit-def: $sgpr16
.LBB6_1371:                             ;   in Loop: Header=BB6_1337 Depth=1
	global_load_dwordx2 v[16:17], v7, s[4:5]
	s_add_i32 s16, s17, -8
	s_add_u32 s4, s4, 8
	s_addc_u32 s5, s5, 0
.LBB6_1372:                             ;   in Loop: Header=BB6_1337 Depth=1
	s_cmp_gt_u32 s16, 7
	s_cbranch_scc1 .LBB6_1377
; %bb.1373:                             ;   in Loop: Header=BB6_1337 Depth=1
	v_mov_b32_e32 v18, 0
	v_mov_b32_e32 v19, 0
	s_cmp_eq_u32 s16, 0
	s_cbranch_scc1 .LBB6_1376
; %bb.1374:                             ;   in Loop: Header=BB6_1337 Depth=1
	s_mov_b64 s[12:13], 0
	s_mov_b64 s[14:15], 0
.LBB6_1375:                             ;   Parent Loop BB6_1337 Depth=1
                                        ; =>  This Inner Loop Header: Depth=2
	s_add_u32 s18, s4, s14
	s_addc_u32 s19, s5, s15
	s_add_u32 s14, s14, 1
	global_load_ubyte v6, v7, s[18:19]
	s_addc_u32 s15, s15, 0
	s_waitcnt vmcnt(0)
	v_and_b32_e32 v6, 0xffff, v6
	v_lshlrev_b64 v[20:21], s12, v[6:7]
	s_add_u32 s12, s12, 8
	s_addc_u32 s13, s13, 0
	s_cmp_lg_u32 s16, s14
	v_or_b32_e32 v18, v20, v18
	v_or_b32_e32 v19, v21, v19
	s_cbranch_scc1 .LBB6_1375
.LBB6_1376:                             ;   in Loop: Header=BB6_1337 Depth=1
	s_mov_b32 s17, 0
	s_cbranch_execz .LBB6_1378
	s_branch .LBB6_1379
.LBB6_1377:                             ;   in Loop: Header=BB6_1337 Depth=1
                                        ; implicit-def: $vgpr18_vgpr19
                                        ; implicit-def: $sgpr17
.LBB6_1378:                             ;   in Loop: Header=BB6_1337 Depth=1
	global_load_dwordx2 v[18:19], v7, s[4:5]
	s_add_i32 s17, s16, -8
	s_add_u32 s4, s4, 8
	s_addc_u32 s5, s5, 0
.LBB6_1379:                             ;   in Loop: Header=BB6_1337 Depth=1
	s_cmp_gt_u32 s17, 7
	s_cbranch_scc1 .LBB6_1384
; %bb.1380:                             ;   in Loop: Header=BB6_1337 Depth=1
	v_mov_b32_e32 v20, 0
	v_mov_b32_e32 v21, 0
	s_cmp_eq_u32 s17, 0
	s_cbranch_scc1 .LBB6_1383
; %bb.1381:                             ;   in Loop: Header=BB6_1337 Depth=1
	s_mov_b64 s[12:13], 0
	s_mov_b64 s[14:15], s[4:5]
.LBB6_1382:                             ;   Parent Loop BB6_1337 Depth=1
                                        ; =>  This Inner Loop Header: Depth=2
	global_load_ubyte v6, v7, s[14:15]
	s_add_i32 s17, s17, -1
	s_waitcnt vmcnt(0)
	v_and_b32_e32 v6, 0xffff, v6
	v_lshlrev_b64 v[22:23], s12, v[6:7]
	s_add_u32 s12, s12, 8
	s_addc_u32 s13, s13, 0
	s_add_u32 s14, s14, 1
	s_addc_u32 s15, s15, 0
	s_cmp_lg_u32 s17, 0
	v_or_b32_e32 v20, v22, v20
	v_or_b32_e32 v21, v23, v21
	s_cbranch_scc1 .LBB6_1382
.LBB6_1383:                             ;   in Loop: Header=BB6_1337 Depth=1
	s_cbranch_execz .LBB6_1385
	s_branch .LBB6_1386
.LBB6_1384:                             ;   in Loop: Header=BB6_1337 Depth=1
.LBB6_1385:                             ;   in Loop: Header=BB6_1337 Depth=1
	global_load_dwordx2 v[20:21], v7, s[4:5]
.LBB6_1386:                             ;   in Loop: Header=BB6_1337 Depth=1
	v_readfirstlane_b32 s4, v42
	v_mov_b32_e32 v26, 0
	v_mov_b32_e32 v27, 0
	v_cmp_eq_u32_e64 s4, s4, v42
	s_and_saveexec_b32 s5, s4
	s_cbranch_execz .LBB6_1392
; %bb.1387:                             ;   in Loop: Header=BB6_1337 Depth=1
	global_load_dwordx2 v[24:25], v7, s[38:39] offset:24 glc dlc
	s_waitcnt vmcnt(0)
	buffer_gl1_inv
	buffer_gl0_inv
	s_clause 0x1
	global_load_dwordx2 v[22:23], v7, s[38:39] offset:40
	global_load_dwordx2 v[26:27], v7, s[38:39]
	s_mov_b32 s12, exec_lo
	s_waitcnt vmcnt(1)
	v_and_b32_e32 v6, v23, v25
	v_and_b32_e32 v22, v22, v24
	v_mul_lo_u32 v6, v6, 24
	v_mul_hi_u32 v23, v22, 24
	v_mul_lo_u32 v22, v22, 24
	v_add_nc_u32_e32 v6, v23, v6
	s_waitcnt vmcnt(0)
	v_add_co_u32 v22, vcc_lo, v26, v22
	v_add_co_ci_u32_e32 v23, vcc_lo, v27, v6, vcc_lo
	global_load_dwordx2 v[22:23], v[22:23], off glc dlc
	s_waitcnt vmcnt(0)
	global_atomic_cmpswap_x2 v[26:27], v7, v[22:25], s[38:39] offset:24 glc
	s_waitcnt vmcnt(0)
	buffer_gl1_inv
	buffer_gl0_inv
	v_cmpx_ne_u64_e64 v[26:27], v[24:25]
	s_cbranch_execz .LBB6_1391
; %bb.1388:                             ;   in Loop: Header=BB6_1337 Depth=1
	s_mov_b32 s13, 0
	.p2align	6
.LBB6_1389:                             ;   Parent Loop BB6_1337 Depth=1
                                        ; =>  This Inner Loop Header: Depth=2
	s_sleep 1
	s_clause 0x1
	global_load_dwordx2 v[22:23], v7, s[38:39] offset:40
	global_load_dwordx2 v[29:30], v7, s[38:39]
	v_mov_b32_e32 v24, v26
	v_mov_b32_e32 v25, v27
	s_waitcnt vmcnt(1)
	v_and_b32_e32 v6, v22, v24
	v_and_b32_e32 v22, v23, v25
	s_waitcnt vmcnt(0)
	v_mad_u64_u32 v[26:27], null, v6, 24, v[29:30]
	v_mov_b32_e32 v6, v27
	v_mad_u64_u32 v[22:23], null, v22, 24, v[6:7]
	v_mov_b32_e32 v27, v22
	global_load_dwordx2 v[22:23], v[26:27], off glc dlc
	s_waitcnt vmcnt(0)
	global_atomic_cmpswap_x2 v[26:27], v7, v[22:25], s[38:39] offset:24 glc
	s_waitcnt vmcnt(0)
	buffer_gl1_inv
	buffer_gl0_inv
	v_cmp_eq_u64_e32 vcc_lo, v[26:27], v[24:25]
	s_or_b32 s13, vcc_lo, s13
	s_andn2_b32 exec_lo, exec_lo, s13
	s_cbranch_execnz .LBB6_1389
; %bb.1390:                             ;   in Loop: Header=BB6_1337 Depth=1
	s_or_b32 exec_lo, exec_lo, s13
.LBB6_1391:                             ;   in Loop: Header=BB6_1337 Depth=1
	s_or_b32 exec_lo, exec_lo, s12
.LBB6_1392:                             ;   in Loop: Header=BB6_1337 Depth=1
	s_or_b32 exec_lo, exec_lo, s5
	s_clause 0x1
	global_load_dwordx2 v[29:30], v7, s[38:39] offset:40
	global_load_dwordx4 v[22:25], v7, s[38:39]
	v_readfirstlane_b32 s12, v26
	v_readfirstlane_b32 s13, v27
	s_mov_b32 s5, exec_lo
	s_waitcnt vmcnt(1)
	v_readfirstlane_b32 s14, v29
	v_readfirstlane_b32 s15, v30
	s_and_b64 s[14:15], s[12:13], s[14:15]
	s_mul_i32 s16, s15, 24
	s_mul_hi_u32 s17, s14, 24
	s_mul_i32 s18, s14, 24
	s_add_i32 s17, s17, s16
	s_waitcnt vmcnt(0)
	v_add_co_u32 v26, vcc_lo, v22, s18
	v_add_co_ci_u32_e32 v27, vcc_lo, s17, v23, vcc_lo
	s_and_saveexec_b32 s16, s4
	s_cbranch_execz .LBB6_1394
; %bb.1393:                             ;   in Loop: Header=BB6_1337 Depth=1
	v_mov_b32_e32 v6, s5
	global_store_dwordx4 v[26:27], v[6:9], off offset:8
.LBB6_1394:                             ;   in Loop: Header=BB6_1337 Depth=1
	s_or_b32 exec_lo, exec_lo, s16
	s_lshl_b64 s[14:15], s[14:15], 12
	v_cmp_gt_u64_e64 vcc_lo, s[8:9], 56
	v_or_b32_e32 v29, v0, v28
	v_add_co_u32 v24, s5, v24, s14
	v_add_co_ci_u32_e64 v25, s5, s15, v25, s5
	s_lshl_b32 s5, s10, 2
	v_or_b32_e32 v6, 0, v1
	v_cndmask_b32_e32 v0, v29, v0, vcc_lo
	s_add_i32 s5, s5, 28
	v_readfirstlane_b32 s14, v24
	s_and_b32 s5, s5, 0x1e0
	v_cndmask_b32_e32 v1, v6, v1, vcc_lo
	v_readfirstlane_b32 s15, v25
	v_and_or_b32 v0, 0xffffff1f, v0, s5
	global_store_dwordx4 v41, v[0:3], s[14:15]
	global_store_dwordx4 v41, v[10:13], s[14:15] offset:16
	global_store_dwordx4 v41, v[14:17], s[14:15] offset:32
	;; [unrolled: 1-line block ×3, first 2 shown]
	s_and_saveexec_b32 s5, s4
	s_cbranch_execz .LBB6_1402
; %bb.1395:                             ;   in Loop: Header=BB6_1337 Depth=1
	s_clause 0x1
	global_load_dwordx2 v[14:15], v7, s[38:39] offset:32 glc dlc
	global_load_dwordx2 v[0:1], v7, s[38:39] offset:40
	v_mov_b32_e32 v12, s12
	v_mov_b32_e32 v13, s13
	s_waitcnt vmcnt(0)
	v_readfirstlane_b32 s14, v0
	v_readfirstlane_b32 s15, v1
	s_and_b64 s[14:15], s[14:15], s[12:13]
	s_mul_i32 s15, s15, 24
	s_mul_hi_u32 s16, s14, 24
	s_mul_i32 s14, s14, 24
	s_add_i32 s16, s16, s15
	v_add_co_u32 v10, vcc_lo, v22, s14
	v_add_co_ci_u32_e32 v11, vcc_lo, s16, v23, vcc_lo
	s_mov_b32 s14, exec_lo
	global_store_dwordx2 v[10:11], v[14:15], off
	s_waitcnt_vscnt null, 0x0
	global_atomic_cmpswap_x2 v[2:3], v7, v[12:15], s[38:39] offset:32 glc
	s_waitcnt vmcnt(0)
	v_cmpx_ne_u64_e64 v[2:3], v[14:15]
	s_cbranch_execz .LBB6_1398
; %bb.1396:                             ;   in Loop: Header=BB6_1337 Depth=1
	s_mov_b32 s15, 0
.LBB6_1397:                             ;   Parent Loop BB6_1337 Depth=1
                                        ; =>  This Inner Loop Header: Depth=2
	v_mov_b32_e32 v0, s12
	v_mov_b32_e32 v1, s13
	s_sleep 1
	global_store_dwordx2 v[10:11], v[2:3], off
	s_waitcnt_vscnt null, 0x0
	global_atomic_cmpswap_x2 v[0:1], v7, v[0:3], s[38:39] offset:32 glc
	s_waitcnt vmcnt(0)
	v_cmp_eq_u64_e32 vcc_lo, v[0:1], v[2:3]
	v_mov_b32_e32 v3, v1
	v_mov_b32_e32 v2, v0
	s_or_b32 s15, vcc_lo, s15
	s_andn2_b32 exec_lo, exec_lo, s15
	s_cbranch_execnz .LBB6_1397
.LBB6_1398:                             ;   in Loop: Header=BB6_1337 Depth=1
	s_or_b32 exec_lo, exec_lo, s14
	global_load_dwordx2 v[0:1], v7, s[38:39] offset:16
	s_mov_b32 s15, exec_lo
	s_mov_b32 s14, exec_lo
	v_mbcnt_lo_u32_b32 v2, s15, 0
	v_cmpx_eq_u32_e32 0, v2
	s_cbranch_execz .LBB6_1400
; %bb.1399:                             ;   in Loop: Header=BB6_1337 Depth=1
	s_bcnt1_i32_b32 s15, s15
	v_mov_b32_e32 v6, s15
	s_waitcnt vmcnt(0)
	global_atomic_add_x2 v[0:1], v[6:7], off offset:8
.LBB6_1400:                             ;   in Loop: Header=BB6_1337 Depth=1
	s_or_b32 exec_lo, exec_lo, s14
	s_waitcnt vmcnt(0)
	global_load_dwordx2 v[2:3], v[0:1], off offset:16
	s_waitcnt vmcnt(0)
	v_cmp_eq_u64_e32 vcc_lo, 0, v[2:3]
	s_cbranch_vccnz .LBB6_1402
; %bb.1401:                             ;   in Loop: Header=BB6_1337 Depth=1
	global_load_dword v6, v[0:1], off offset:24
	s_waitcnt vmcnt(0)
	v_and_b32_e32 v0, 0x7fffff, v6
	s_waitcnt_vscnt null, 0x0
	global_store_dwordx2 v[2:3], v[6:7], off
	v_readfirstlane_b32 m0, v0
	s_sendmsg sendmsg(MSG_INTERRUPT)
.LBB6_1402:                             ;   in Loop: Header=BB6_1337 Depth=1
	s_or_b32 exec_lo, exec_lo, s5
	v_add_co_u32 v0, vcc_lo, v24, v41
	v_add_co_ci_u32_e32 v1, vcc_lo, 0, v25, vcc_lo
	s_branch .LBB6_1406
	.p2align	6
.LBB6_1403:                             ;   in Loop: Header=BB6_1406 Depth=2
	s_or_b32 exec_lo, exec_lo, s5
	v_readfirstlane_b32 s5, v2
	s_cmp_eq_u32 s5, 0
	s_cbranch_scc1 .LBB6_1405
; %bb.1404:                             ;   in Loop: Header=BB6_1406 Depth=2
	s_sleep 1
	s_cbranch_execnz .LBB6_1406
	s_branch .LBB6_1408
	.p2align	6
.LBB6_1405:                             ;   in Loop: Header=BB6_1337 Depth=1
	s_branch .LBB6_1408
.LBB6_1406:                             ;   Parent Loop BB6_1337 Depth=1
                                        ; =>  This Inner Loop Header: Depth=2
	v_mov_b32_e32 v2, 1
	s_and_saveexec_b32 s5, s4
	s_cbranch_execz .LBB6_1403
; %bb.1407:                             ;   in Loop: Header=BB6_1406 Depth=2
	global_load_dword v2, v[26:27], off offset:20 glc dlc
	s_waitcnt vmcnt(0)
	buffer_gl1_inv
	buffer_gl0_inv
	v_and_b32_e32 v2, 1, v2
	s_branch .LBB6_1403
.LBB6_1408:                             ;   in Loop: Header=BB6_1337 Depth=1
	global_load_dwordx4 v[0:3], v[0:1], off
	s_and_saveexec_b32 s5, s4
	s_cbranch_execz .LBB6_1336
; %bb.1409:                             ;   in Loop: Header=BB6_1337 Depth=1
	s_clause 0x2
	global_load_dwordx2 v[2:3], v7, s[38:39] offset:40
	global_load_dwordx2 v[14:15], v7, s[38:39] offset:24 glc dlc
	global_load_dwordx2 v[12:13], v7, s[38:39]
	s_waitcnt vmcnt(2)
	v_add_co_u32 v6, vcc_lo, v2, 1
	v_add_co_ci_u32_e32 v16, vcc_lo, 0, v3, vcc_lo
	v_add_co_u32 v10, vcc_lo, v6, s12
	v_add_co_ci_u32_e32 v11, vcc_lo, s13, v16, vcc_lo
	v_cmp_eq_u64_e32 vcc_lo, 0, v[10:11]
	v_cndmask_b32_e32 v11, v11, v16, vcc_lo
	v_cndmask_b32_e32 v10, v10, v6, vcc_lo
	v_and_b32_e32 v3, v11, v3
	v_and_b32_e32 v2, v10, v2
	v_mul_lo_u32 v3, v3, 24
	v_mul_hi_u32 v6, v2, 24
	v_mul_lo_u32 v2, v2, 24
	v_add_nc_u32_e32 v3, v6, v3
	s_waitcnt vmcnt(0)
	v_add_co_u32 v2, vcc_lo, v12, v2
	v_mov_b32_e32 v12, v14
	v_add_co_ci_u32_e32 v3, vcc_lo, v13, v3, vcc_lo
	v_mov_b32_e32 v13, v15
	global_store_dwordx2 v[2:3], v[14:15], off
	s_waitcnt_vscnt null, 0x0
	global_atomic_cmpswap_x2 v[12:13], v7, v[10:13], s[38:39] offset:24 glc
	s_waitcnt vmcnt(0)
	v_cmp_ne_u64_e32 vcc_lo, v[12:13], v[14:15]
	s_and_b32 exec_lo, exec_lo, vcc_lo
	s_cbranch_execz .LBB6_1336
; %bb.1410:                             ;   in Loop: Header=BB6_1337 Depth=1
	s_mov_b32 s4, 0
.LBB6_1411:                             ;   Parent Loop BB6_1337 Depth=1
                                        ; =>  This Inner Loop Header: Depth=2
	s_sleep 1
	global_store_dwordx2 v[2:3], v[12:13], off
	s_waitcnt_vscnt null, 0x0
	global_atomic_cmpswap_x2 v[14:15], v7, v[10:13], s[38:39] offset:24 glc
	s_waitcnt vmcnt(0)
	v_cmp_eq_u64_e32 vcc_lo, v[14:15], v[12:13]
	v_mov_b32_e32 v12, v14
	v_mov_b32_e32 v13, v15
	s_or_b32 s4, vcc_lo, s4
	s_andn2_b32 exec_lo, exec_lo, s4
	s_cbranch_execnz .LBB6_1411
	s_branch .LBB6_1336
.LBB6_1412:
	s_mov_b32 s4, 0
	s_branch .LBB6_1414
.LBB6_1413:
	s_mov_b32 s4, -1
                                        ; implicit-def: $vgpr0_vgpr1
.LBB6_1414:
	s_and_b32 vcc_lo, exec_lo, s4
	s_cbranch_vccz .LBB6_1442
; %bb.1415:
	v_readfirstlane_b32 s4, v42
	v_mov_b32_e32 v7, 0
	v_mov_b32_e32 v8, 0
	v_cmp_eq_u32_e64 s4, s4, v42
	s_and_saveexec_b32 s5, s4
	s_cbranch_execz .LBB6_1421
; %bb.1416:
	s_waitcnt vmcnt(0)
	v_mov_b32_e32 v0, 0
	s_mov_b32 s6, exec_lo
	global_load_dwordx2 v[9:10], v0, s[38:39] offset:24 glc dlc
	s_waitcnt vmcnt(0)
	buffer_gl1_inv
	buffer_gl0_inv
	s_clause 0x1
	global_load_dwordx2 v[1:2], v0, s[38:39] offset:40
	global_load_dwordx2 v[6:7], v0, s[38:39]
	s_waitcnt vmcnt(1)
	v_and_b32_e32 v2, v2, v10
	v_and_b32_e32 v1, v1, v9
	v_mul_lo_u32 v2, v2, 24
	v_mul_hi_u32 v3, v1, 24
	v_mul_lo_u32 v1, v1, 24
	v_add_nc_u32_e32 v2, v3, v2
	s_waitcnt vmcnt(0)
	v_add_co_u32 v1, vcc_lo, v6, v1
	v_add_co_ci_u32_e32 v2, vcc_lo, v7, v2, vcc_lo
	global_load_dwordx2 v[7:8], v[1:2], off glc dlc
	s_waitcnt vmcnt(0)
	global_atomic_cmpswap_x2 v[7:8], v0, v[7:10], s[38:39] offset:24 glc
	s_waitcnt vmcnt(0)
	buffer_gl1_inv
	buffer_gl0_inv
	v_cmpx_ne_u64_e64 v[7:8], v[9:10]
	s_cbranch_execz .LBB6_1420
; %bb.1417:
	s_mov_b32 s7, 0
.LBB6_1418:                             ; =>This Inner Loop Header: Depth=1
	s_sleep 1
	s_clause 0x1
	global_load_dwordx2 v[1:2], v0, s[38:39] offset:40
	global_load_dwordx2 v[11:12], v0, s[38:39]
	v_mov_b32_e32 v10, v8
	v_mov_b32_e32 v9, v7
	s_waitcnt vmcnt(1)
	v_and_b32_e32 v1, v1, v9
	v_and_b32_e32 v2, v2, v10
	s_waitcnt vmcnt(0)
	v_mad_u64_u32 v[6:7], null, v1, 24, v[11:12]
	v_mov_b32_e32 v1, v7
	v_mad_u64_u32 v[1:2], null, v2, 24, v[1:2]
	v_mov_b32_e32 v7, v1
	global_load_dwordx2 v[7:8], v[6:7], off glc dlc
	s_waitcnt vmcnt(0)
	global_atomic_cmpswap_x2 v[7:8], v0, v[7:10], s[38:39] offset:24 glc
	s_waitcnt vmcnt(0)
	buffer_gl1_inv
	buffer_gl0_inv
	v_cmp_eq_u64_e32 vcc_lo, v[7:8], v[9:10]
	s_or_b32 s7, vcc_lo, s7
	s_andn2_b32 exec_lo, exec_lo, s7
	s_cbranch_execnz .LBB6_1418
; %bb.1419:
	s_or_b32 exec_lo, exec_lo, s7
.LBB6_1420:
	s_or_b32 exec_lo, exec_lo, s6
.LBB6_1421:
	s_or_b32 exec_lo, exec_lo, s5
	v_mov_b32_e32 v6, 0
	v_readfirstlane_b32 s6, v7
	v_readfirstlane_b32 s7, v8
	s_mov_b32 s5, exec_lo
	s_clause 0x1
	global_load_dwordx2 v[9:10], v6, s[38:39] offset:40
	global_load_dwordx4 v[0:3], v6, s[38:39]
	s_waitcnt vmcnt(1)
	v_readfirstlane_b32 s8, v9
	v_readfirstlane_b32 s9, v10
	s_and_b64 s[8:9], s[6:7], s[8:9]
	s_mul_i32 s10, s9, 24
	s_mul_hi_u32 s11, s8, 24
	s_mul_i32 s12, s8, 24
	s_add_i32 s11, s11, s10
	s_waitcnt vmcnt(0)
	v_add_co_u32 v8, vcc_lo, v0, s12
	v_add_co_ci_u32_e32 v9, vcc_lo, s11, v1, vcc_lo
	s_and_saveexec_b32 s10, s4
	s_cbranch_execz .LBB6_1423
; %bb.1422:
	v_mov_b32_e32 v10, s5
	v_mov_b32_e32 v11, v6
	v_mov_b32_e32 v12, 2
	v_mov_b32_e32 v13, 1
	global_store_dwordx4 v[8:9], v[10:13], off offset:8
.LBB6_1423:
	s_or_b32 exec_lo, exec_lo, s10
	s_lshl_b64 s[8:9], s[8:9], 12
	v_and_or_b32 v4, 0xffffff1f, v4, 32
	v_add_co_u32 v2, vcc_lo, v2, s8
	v_add_co_ci_u32_e32 v3, vcc_lo, s9, v3, vcc_lo
	s_mov_b32 s8, 0
	v_add_co_u32 v10, vcc_lo, v2, v41
	s_mov_b32 s11, s8
	s_mov_b32 s9, s8
	s_mov_b32 s10, s8
	v_mov_b32_e32 v7, v6
	v_readfirstlane_b32 s12, v2
	v_readfirstlane_b32 s13, v3
	v_mov_b32_e32 v15, s11
	v_add_co_ci_u32_e32 v11, vcc_lo, 0, v3, vcc_lo
	v_mov_b32_e32 v14, s10
	v_mov_b32_e32 v13, s9
	;; [unrolled: 1-line block ×3, first 2 shown]
	global_store_dwordx4 v41, v[4:7], s[12:13]
	global_store_dwordx4 v41, v[12:15], s[12:13] offset:16
	global_store_dwordx4 v41, v[12:15], s[12:13] offset:32
	;; [unrolled: 1-line block ×3, first 2 shown]
	s_and_saveexec_b32 s5, s4
	s_cbranch_execz .LBB6_1431
; %bb.1424:
	v_mov_b32_e32 v6, 0
	v_mov_b32_e32 v12, s6
	;; [unrolled: 1-line block ×3, first 2 shown]
	s_clause 0x1
	global_load_dwordx2 v[14:15], v6, s[38:39] offset:32 glc dlc
	global_load_dwordx2 v[2:3], v6, s[38:39] offset:40
	s_waitcnt vmcnt(0)
	v_readfirstlane_b32 s8, v2
	v_readfirstlane_b32 s9, v3
	s_and_b64 s[8:9], s[8:9], s[6:7]
	s_mul_i32 s9, s9, 24
	s_mul_hi_u32 s10, s8, 24
	s_mul_i32 s8, s8, 24
	s_add_i32 s10, s10, s9
	v_add_co_u32 v4, vcc_lo, v0, s8
	v_add_co_ci_u32_e32 v5, vcc_lo, s10, v1, vcc_lo
	s_mov_b32 s8, exec_lo
	global_store_dwordx2 v[4:5], v[14:15], off
	s_waitcnt_vscnt null, 0x0
	global_atomic_cmpswap_x2 v[2:3], v6, v[12:15], s[38:39] offset:32 glc
	s_waitcnt vmcnt(0)
	v_cmpx_ne_u64_e64 v[2:3], v[14:15]
	s_cbranch_execz .LBB6_1427
; %bb.1425:
	s_mov_b32 s9, 0
.LBB6_1426:                             ; =>This Inner Loop Header: Depth=1
	v_mov_b32_e32 v0, s6
	v_mov_b32_e32 v1, s7
	s_sleep 1
	global_store_dwordx2 v[4:5], v[2:3], off
	s_waitcnt_vscnt null, 0x0
	global_atomic_cmpswap_x2 v[0:1], v6, v[0:3], s[38:39] offset:32 glc
	s_waitcnt vmcnt(0)
	v_cmp_eq_u64_e32 vcc_lo, v[0:1], v[2:3]
	v_mov_b32_e32 v3, v1
	v_mov_b32_e32 v2, v0
	s_or_b32 s9, vcc_lo, s9
	s_andn2_b32 exec_lo, exec_lo, s9
	s_cbranch_execnz .LBB6_1426
.LBB6_1427:
	s_or_b32 exec_lo, exec_lo, s8
	v_mov_b32_e32 v3, 0
	s_mov_b32 s9, exec_lo
	s_mov_b32 s8, exec_lo
	v_mbcnt_lo_u32_b32 v2, s9, 0
	global_load_dwordx2 v[0:1], v3, s[38:39] offset:16
	v_cmpx_eq_u32_e32 0, v2
	s_cbranch_execz .LBB6_1429
; %bb.1428:
	s_bcnt1_i32_b32 s9, s9
	v_mov_b32_e32 v2, s9
	s_waitcnt vmcnt(0)
	global_atomic_add_x2 v[0:1], v[2:3], off offset:8
.LBB6_1429:
	s_or_b32 exec_lo, exec_lo, s8
	s_waitcnt vmcnt(0)
	global_load_dwordx2 v[2:3], v[0:1], off offset:16
	s_waitcnt vmcnt(0)
	v_cmp_eq_u64_e32 vcc_lo, 0, v[2:3]
	s_cbranch_vccnz .LBB6_1431
; %bb.1430:
	global_load_dword v0, v[0:1], off offset:24
	v_mov_b32_e32 v1, 0
	s_waitcnt vmcnt(0)
	v_and_b32_e32 v4, 0x7fffff, v0
	s_waitcnt_vscnt null, 0x0
	global_store_dwordx2 v[2:3], v[0:1], off
	v_readfirstlane_b32 m0, v4
	s_sendmsg sendmsg(MSG_INTERRUPT)
.LBB6_1431:
	s_or_b32 exec_lo, exec_lo, s5
	s_branch .LBB6_1435
	.p2align	6
.LBB6_1432:                             ;   in Loop: Header=BB6_1435 Depth=1
	s_or_b32 exec_lo, exec_lo, s5
	v_readfirstlane_b32 s5, v0
	s_cmp_eq_u32 s5, 0
	s_cbranch_scc1 .LBB6_1434
; %bb.1433:                             ;   in Loop: Header=BB6_1435 Depth=1
	s_sleep 1
	s_cbranch_execnz .LBB6_1435
	s_branch .LBB6_1437
.LBB6_1434:
	s_branch .LBB6_1437
.LBB6_1435:                             ; =>This Inner Loop Header: Depth=1
	v_mov_b32_e32 v0, 1
	s_and_saveexec_b32 s5, s4
	s_cbranch_execz .LBB6_1432
; %bb.1436:                             ;   in Loop: Header=BB6_1435 Depth=1
	global_load_dword v0, v[8:9], off offset:20 glc dlc
	s_waitcnt vmcnt(0)
	buffer_gl1_inv
	buffer_gl0_inv
	v_and_b32_e32 v0, 1, v0
	s_branch .LBB6_1432
.LBB6_1437:
	global_load_dwordx2 v[0:1], v[10:11], off
	s_and_saveexec_b32 s5, s4
	s_cbranch_execz .LBB6_1441
; %bb.1438:
	v_mov_b32_e32 v8, 0
	s_clause 0x2
	global_load_dwordx2 v[4:5], v8, s[38:39] offset:40
	global_load_dwordx2 v[9:10], v8, s[38:39] offset:24 glc dlc
	global_load_dwordx2 v[6:7], v8, s[38:39]
	s_waitcnt vmcnt(2)
	v_add_co_u32 v11, vcc_lo, v4, 1
	v_add_co_ci_u32_e32 v12, vcc_lo, 0, v5, vcc_lo
	v_add_co_u32 v2, vcc_lo, v11, s6
	v_add_co_ci_u32_e32 v3, vcc_lo, s7, v12, vcc_lo
	v_cmp_eq_u64_e32 vcc_lo, 0, v[2:3]
	v_cndmask_b32_e32 v3, v3, v12, vcc_lo
	v_cndmask_b32_e32 v2, v2, v11, vcc_lo
	v_and_b32_e32 v5, v3, v5
	v_and_b32_e32 v4, v2, v4
	v_mul_lo_u32 v5, v5, 24
	v_mul_hi_u32 v11, v4, 24
	v_mul_lo_u32 v4, v4, 24
	v_add_nc_u32_e32 v5, v11, v5
	s_waitcnt vmcnt(0)
	v_add_co_u32 v6, vcc_lo, v6, v4
	v_mov_b32_e32 v4, v9
	v_add_co_ci_u32_e32 v7, vcc_lo, v7, v5, vcc_lo
	v_mov_b32_e32 v5, v10
	global_store_dwordx2 v[6:7], v[9:10], off
	s_waitcnt_vscnt null, 0x0
	global_atomic_cmpswap_x2 v[4:5], v8, v[2:5], s[38:39] offset:24 glc
	s_waitcnt vmcnt(0)
	v_cmp_ne_u64_e32 vcc_lo, v[4:5], v[9:10]
	s_and_b32 exec_lo, exec_lo, vcc_lo
	s_cbranch_execz .LBB6_1441
; %bb.1439:
	s_mov_b32 s4, 0
.LBB6_1440:                             ; =>This Inner Loop Header: Depth=1
	s_sleep 1
	global_store_dwordx2 v[6:7], v[4:5], off
	s_waitcnt_vscnt null, 0x0
	global_atomic_cmpswap_x2 v[9:10], v8, v[2:5], s[38:39] offset:24 glc
	s_waitcnt vmcnt(0)
	v_cmp_eq_u64_e32 vcc_lo, v[9:10], v[4:5]
	v_mov_b32_e32 v4, v9
	v_mov_b32_e32 v5, v10
	s_or_b32 s4, vcc_lo, s4
	s_andn2_b32 exec_lo, exec_lo, s4
	s_cbranch_execnz .LBB6_1440
.LBB6_1441:
	s_or_b32 exec_lo, exec_lo, s5
.LBB6_1442:
	s_getpc_b64 s[6:7]
	s_add_u32 s6, s6, .str.5@rel32@lo+4
	s_addc_u32 s7, s7, .str.5@rel32@hi+12
	s_cmp_lg_u64 s[6:7], 0
	s_cbranch_scc0 .LBB6_1521
; %bb.1443:
	s_waitcnt vmcnt(0)
	v_and_b32_e32 v6, -3, v0
	v_mov_b32_e32 v7, v1
	v_mov_b32_e32 v3, 0
	;; [unrolled: 1-line block ×4, first 2 shown]
	s_mov_b64 s[8:9], 13
	s_branch .LBB6_1445
.LBB6_1444:                             ;   in Loop: Header=BB6_1445 Depth=1
	s_or_b32 exec_lo, exec_lo, s5
	s_sub_u32 s8, s8, s10
	s_subb_u32 s9, s9, s11
	s_add_u32 s6, s6, s10
	s_addc_u32 s7, s7, s11
	s_cmp_lg_u64 s[8:9], 0
	s_cbranch_scc0 .LBB6_1520
.LBB6_1445:                             ; =>This Loop Header: Depth=1
                                        ;     Child Loop BB6_1454 Depth 2
                                        ;     Child Loop BB6_1450 Depth 2
	;; [unrolled: 1-line block ×11, first 2 shown]
	v_cmp_lt_u64_e64 s4, s[8:9], 56
	v_cmp_gt_u64_e64 s5, s[8:9], 7
                                        ; implicit-def: $sgpr16
	s_and_b32 s4, s4, exec_lo
	s_cselect_b32 s11, s9, 0
	s_cselect_b32 s10, s8, 56
	s_and_b32 vcc_lo, exec_lo, s5
	s_mov_b32 s4, -1
	s_cbranch_vccz .LBB6_1452
; %bb.1446:                             ;   in Loop: Header=BB6_1445 Depth=1
	s_andn2_b32 vcc_lo, exec_lo, s4
	s_mov_b64 s[4:5], s[6:7]
	s_cbranch_vccz .LBB6_1456
.LBB6_1447:                             ;   in Loop: Header=BB6_1445 Depth=1
	s_cmp_gt_u32 s16, 7
	s_cbranch_scc1 .LBB6_1457
.LBB6_1448:                             ;   in Loop: Header=BB6_1445 Depth=1
	v_mov_b32_e32 v10, 0
	v_mov_b32_e32 v11, 0
	s_cmp_eq_u32 s16, 0
	s_cbranch_scc1 .LBB6_1451
; %bb.1449:                             ;   in Loop: Header=BB6_1445 Depth=1
	s_mov_b64 s[12:13], 0
	s_mov_b64 s[14:15], 0
.LBB6_1450:                             ;   Parent Loop BB6_1445 Depth=1
                                        ; =>  This Inner Loop Header: Depth=2
	s_add_u32 s18, s4, s14
	s_addc_u32 s19, s5, s15
	s_add_u32 s14, s14, 1
	global_load_ubyte v2, v3, s[18:19]
	s_addc_u32 s15, s15, 0
	s_waitcnt vmcnt(0)
	v_and_b32_e32 v2, 0xffff, v2
	v_lshlrev_b64 v[12:13], s12, v[2:3]
	s_add_u32 s12, s12, 8
	s_addc_u32 s13, s13, 0
	s_cmp_lg_u32 s16, s14
	v_or_b32_e32 v10, v12, v10
	v_or_b32_e32 v11, v13, v11
	s_cbranch_scc1 .LBB6_1450
.LBB6_1451:                             ;   in Loop: Header=BB6_1445 Depth=1
	s_mov_b32 s17, 0
	s_cbranch_execz .LBB6_1458
	s_branch .LBB6_1459
.LBB6_1452:                             ;   in Loop: Header=BB6_1445 Depth=1
	s_waitcnt vmcnt(0)
	v_mov_b32_e32 v8, 0
	v_mov_b32_e32 v9, 0
	s_cmp_eq_u64 s[8:9], 0
	s_mov_b64 s[4:5], 0
	s_cbranch_scc1 .LBB6_1455
; %bb.1453:                             ;   in Loop: Header=BB6_1445 Depth=1
	v_mov_b32_e32 v8, 0
	v_mov_b32_e32 v9, 0
	s_lshl_b64 s[12:13], s[10:11], 3
	s_mov_b64 s[14:15], s[6:7]
.LBB6_1454:                             ;   Parent Loop BB6_1445 Depth=1
                                        ; =>  This Inner Loop Header: Depth=2
	global_load_ubyte v2, v3, s[14:15]
	s_waitcnt vmcnt(0)
	v_and_b32_e32 v2, 0xffff, v2
	v_lshlrev_b64 v[10:11], s4, v[2:3]
	s_add_u32 s4, s4, 8
	s_addc_u32 s5, s5, 0
	s_add_u32 s14, s14, 1
	s_addc_u32 s15, s15, 0
	s_cmp_lg_u32 s12, s4
	v_or_b32_e32 v8, v10, v8
	v_or_b32_e32 v9, v11, v9
	s_cbranch_scc1 .LBB6_1454
.LBB6_1455:                             ;   in Loop: Header=BB6_1445 Depth=1
	s_mov_b32 s16, 0
	s_mov_b64 s[4:5], s[6:7]
	s_cbranch_execnz .LBB6_1447
.LBB6_1456:                             ;   in Loop: Header=BB6_1445 Depth=1
	global_load_dwordx2 v[8:9], v3, s[6:7]
	s_add_i32 s16, s10, -8
	s_add_u32 s4, s6, 8
	s_addc_u32 s5, s7, 0
	s_cmp_gt_u32 s16, 7
	s_cbranch_scc0 .LBB6_1448
.LBB6_1457:                             ;   in Loop: Header=BB6_1445 Depth=1
                                        ; implicit-def: $vgpr10_vgpr11
                                        ; implicit-def: $sgpr17
.LBB6_1458:                             ;   in Loop: Header=BB6_1445 Depth=1
	global_load_dwordx2 v[10:11], v3, s[4:5]
	s_add_i32 s17, s16, -8
	s_add_u32 s4, s4, 8
	s_addc_u32 s5, s5, 0
.LBB6_1459:                             ;   in Loop: Header=BB6_1445 Depth=1
	s_cmp_gt_u32 s17, 7
	s_cbranch_scc1 .LBB6_1464
; %bb.1460:                             ;   in Loop: Header=BB6_1445 Depth=1
	v_mov_b32_e32 v12, 0
	v_mov_b32_e32 v13, 0
	s_cmp_eq_u32 s17, 0
	s_cbranch_scc1 .LBB6_1463
; %bb.1461:                             ;   in Loop: Header=BB6_1445 Depth=1
	s_mov_b64 s[12:13], 0
	s_mov_b64 s[14:15], 0
.LBB6_1462:                             ;   Parent Loop BB6_1445 Depth=1
                                        ; =>  This Inner Loop Header: Depth=2
	s_add_u32 s18, s4, s14
	s_addc_u32 s19, s5, s15
	s_add_u32 s14, s14, 1
	global_load_ubyte v2, v3, s[18:19]
	s_addc_u32 s15, s15, 0
	s_waitcnt vmcnt(0)
	v_and_b32_e32 v2, 0xffff, v2
	v_lshlrev_b64 v[14:15], s12, v[2:3]
	s_add_u32 s12, s12, 8
	s_addc_u32 s13, s13, 0
	s_cmp_lg_u32 s17, s14
	v_or_b32_e32 v12, v14, v12
	v_or_b32_e32 v13, v15, v13
	s_cbranch_scc1 .LBB6_1462
.LBB6_1463:                             ;   in Loop: Header=BB6_1445 Depth=1
	s_mov_b32 s16, 0
	s_cbranch_execz .LBB6_1465
	s_branch .LBB6_1466
.LBB6_1464:                             ;   in Loop: Header=BB6_1445 Depth=1
                                        ; implicit-def: $sgpr16
.LBB6_1465:                             ;   in Loop: Header=BB6_1445 Depth=1
	global_load_dwordx2 v[12:13], v3, s[4:5]
	s_add_i32 s16, s17, -8
	s_add_u32 s4, s4, 8
	s_addc_u32 s5, s5, 0
.LBB6_1466:                             ;   in Loop: Header=BB6_1445 Depth=1
	s_cmp_gt_u32 s16, 7
	s_cbranch_scc1 .LBB6_1471
; %bb.1467:                             ;   in Loop: Header=BB6_1445 Depth=1
	v_mov_b32_e32 v14, 0
	v_mov_b32_e32 v15, 0
	s_cmp_eq_u32 s16, 0
	s_cbranch_scc1 .LBB6_1470
; %bb.1468:                             ;   in Loop: Header=BB6_1445 Depth=1
	s_mov_b64 s[12:13], 0
	s_mov_b64 s[14:15], 0
.LBB6_1469:                             ;   Parent Loop BB6_1445 Depth=1
                                        ; =>  This Inner Loop Header: Depth=2
	s_add_u32 s18, s4, s14
	s_addc_u32 s19, s5, s15
	s_add_u32 s14, s14, 1
	global_load_ubyte v2, v3, s[18:19]
	s_addc_u32 s15, s15, 0
	s_waitcnt vmcnt(0)
	v_and_b32_e32 v2, 0xffff, v2
	v_lshlrev_b64 v[16:17], s12, v[2:3]
	s_add_u32 s12, s12, 8
	s_addc_u32 s13, s13, 0
	s_cmp_lg_u32 s16, s14
	v_or_b32_e32 v14, v16, v14
	v_or_b32_e32 v15, v17, v15
	s_cbranch_scc1 .LBB6_1469
.LBB6_1470:                             ;   in Loop: Header=BB6_1445 Depth=1
	s_mov_b32 s17, 0
	s_cbranch_execz .LBB6_1472
	s_branch .LBB6_1473
.LBB6_1471:                             ;   in Loop: Header=BB6_1445 Depth=1
                                        ; implicit-def: $vgpr14_vgpr15
                                        ; implicit-def: $sgpr17
.LBB6_1472:                             ;   in Loop: Header=BB6_1445 Depth=1
	global_load_dwordx2 v[14:15], v3, s[4:5]
	s_add_i32 s17, s16, -8
	s_add_u32 s4, s4, 8
	s_addc_u32 s5, s5, 0
.LBB6_1473:                             ;   in Loop: Header=BB6_1445 Depth=1
	s_cmp_gt_u32 s17, 7
	s_cbranch_scc1 .LBB6_1478
; %bb.1474:                             ;   in Loop: Header=BB6_1445 Depth=1
	v_mov_b32_e32 v16, 0
	v_mov_b32_e32 v17, 0
	s_cmp_eq_u32 s17, 0
	s_cbranch_scc1 .LBB6_1477
; %bb.1475:                             ;   in Loop: Header=BB6_1445 Depth=1
	s_mov_b64 s[12:13], 0
	s_mov_b64 s[14:15], 0
.LBB6_1476:                             ;   Parent Loop BB6_1445 Depth=1
                                        ; =>  This Inner Loop Header: Depth=2
	s_add_u32 s18, s4, s14
	s_addc_u32 s19, s5, s15
	s_add_u32 s14, s14, 1
	global_load_ubyte v2, v3, s[18:19]
	s_addc_u32 s15, s15, 0
	s_waitcnt vmcnt(0)
	v_and_b32_e32 v2, 0xffff, v2
	v_lshlrev_b64 v[18:19], s12, v[2:3]
	s_add_u32 s12, s12, 8
	s_addc_u32 s13, s13, 0
	s_cmp_lg_u32 s17, s14
	v_or_b32_e32 v16, v18, v16
	v_or_b32_e32 v17, v19, v17
	s_cbranch_scc1 .LBB6_1476
.LBB6_1477:                             ;   in Loop: Header=BB6_1445 Depth=1
	s_mov_b32 s16, 0
	s_cbranch_execz .LBB6_1479
	s_branch .LBB6_1480
.LBB6_1478:                             ;   in Loop: Header=BB6_1445 Depth=1
                                        ; implicit-def: $sgpr16
.LBB6_1479:                             ;   in Loop: Header=BB6_1445 Depth=1
	global_load_dwordx2 v[16:17], v3, s[4:5]
	s_add_i32 s16, s17, -8
	s_add_u32 s4, s4, 8
	s_addc_u32 s5, s5, 0
.LBB6_1480:                             ;   in Loop: Header=BB6_1445 Depth=1
	s_cmp_gt_u32 s16, 7
	s_cbranch_scc1 .LBB6_1485
; %bb.1481:                             ;   in Loop: Header=BB6_1445 Depth=1
	v_mov_b32_e32 v18, 0
	v_mov_b32_e32 v19, 0
	s_cmp_eq_u32 s16, 0
	s_cbranch_scc1 .LBB6_1484
; %bb.1482:                             ;   in Loop: Header=BB6_1445 Depth=1
	s_mov_b64 s[12:13], 0
	s_mov_b64 s[14:15], 0
.LBB6_1483:                             ;   Parent Loop BB6_1445 Depth=1
                                        ; =>  This Inner Loop Header: Depth=2
	s_add_u32 s18, s4, s14
	s_addc_u32 s19, s5, s15
	s_add_u32 s14, s14, 1
	global_load_ubyte v2, v3, s[18:19]
	s_addc_u32 s15, s15, 0
	s_waitcnt vmcnt(0)
	v_and_b32_e32 v2, 0xffff, v2
	v_lshlrev_b64 v[20:21], s12, v[2:3]
	s_add_u32 s12, s12, 8
	s_addc_u32 s13, s13, 0
	s_cmp_lg_u32 s16, s14
	v_or_b32_e32 v18, v20, v18
	v_or_b32_e32 v19, v21, v19
	s_cbranch_scc1 .LBB6_1483
.LBB6_1484:                             ;   in Loop: Header=BB6_1445 Depth=1
	s_mov_b32 s17, 0
	s_cbranch_execz .LBB6_1486
	s_branch .LBB6_1487
.LBB6_1485:                             ;   in Loop: Header=BB6_1445 Depth=1
                                        ; implicit-def: $vgpr18_vgpr19
                                        ; implicit-def: $sgpr17
.LBB6_1486:                             ;   in Loop: Header=BB6_1445 Depth=1
	global_load_dwordx2 v[18:19], v3, s[4:5]
	s_add_i32 s17, s16, -8
	s_add_u32 s4, s4, 8
	s_addc_u32 s5, s5, 0
.LBB6_1487:                             ;   in Loop: Header=BB6_1445 Depth=1
	s_cmp_gt_u32 s17, 7
	s_cbranch_scc1 .LBB6_1492
; %bb.1488:                             ;   in Loop: Header=BB6_1445 Depth=1
	v_mov_b32_e32 v20, 0
	v_mov_b32_e32 v21, 0
	s_cmp_eq_u32 s17, 0
	s_cbranch_scc1 .LBB6_1491
; %bb.1489:                             ;   in Loop: Header=BB6_1445 Depth=1
	s_mov_b64 s[12:13], 0
	s_mov_b64 s[14:15], s[4:5]
.LBB6_1490:                             ;   Parent Loop BB6_1445 Depth=1
                                        ; =>  This Inner Loop Header: Depth=2
	global_load_ubyte v2, v3, s[14:15]
	s_add_i32 s17, s17, -1
	s_waitcnt vmcnt(0)
	v_and_b32_e32 v2, 0xffff, v2
	v_lshlrev_b64 v[22:23], s12, v[2:3]
	s_add_u32 s12, s12, 8
	s_addc_u32 s13, s13, 0
	s_add_u32 s14, s14, 1
	s_addc_u32 s15, s15, 0
	s_cmp_lg_u32 s17, 0
	v_or_b32_e32 v20, v22, v20
	v_or_b32_e32 v21, v23, v21
	s_cbranch_scc1 .LBB6_1490
.LBB6_1491:                             ;   in Loop: Header=BB6_1445 Depth=1
	s_cbranch_execz .LBB6_1493
	s_branch .LBB6_1494
.LBB6_1492:                             ;   in Loop: Header=BB6_1445 Depth=1
.LBB6_1493:                             ;   in Loop: Header=BB6_1445 Depth=1
	global_load_dwordx2 v[20:21], v3, s[4:5]
.LBB6_1494:                             ;   in Loop: Header=BB6_1445 Depth=1
	v_readfirstlane_b32 s4, v42
	v_mov_b32_e32 v26, 0
	v_mov_b32_e32 v27, 0
	v_cmp_eq_u32_e64 s4, s4, v42
	s_and_saveexec_b32 s5, s4
	s_cbranch_execz .LBB6_1500
; %bb.1495:                             ;   in Loop: Header=BB6_1445 Depth=1
	global_load_dwordx2 v[24:25], v3, s[38:39] offset:24 glc dlc
	s_waitcnt vmcnt(0)
	buffer_gl1_inv
	buffer_gl0_inv
	s_clause 0x1
	global_load_dwordx2 v[22:23], v3, s[38:39] offset:40
	global_load_dwordx2 v[26:27], v3, s[38:39]
	s_mov_b32 s12, exec_lo
	s_waitcnt vmcnt(1)
	v_and_b32_e32 v2, v23, v25
	v_and_b32_e32 v22, v22, v24
	v_mul_lo_u32 v2, v2, 24
	v_mul_hi_u32 v23, v22, 24
	v_mul_lo_u32 v22, v22, 24
	v_add_nc_u32_e32 v2, v23, v2
	s_waitcnt vmcnt(0)
	v_add_co_u32 v22, vcc_lo, v26, v22
	v_add_co_ci_u32_e32 v23, vcc_lo, v27, v2, vcc_lo
	global_load_dwordx2 v[22:23], v[22:23], off glc dlc
	s_waitcnt vmcnt(0)
	global_atomic_cmpswap_x2 v[26:27], v3, v[22:25], s[38:39] offset:24 glc
	s_waitcnt vmcnt(0)
	buffer_gl1_inv
	buffer_gl0_inv
	v_cmpx_ne_u64_e64 v[26:27], v[24:25]
	s_cbranch_execz .LBB6_1499
; %bb.1496:                             ;   in Loop: Header=BB6_1445 Depth=1
	s_mov_b32 s13, 0
	.p2align	6
.LBB6_1497:                             ;   Parent Loop BB6_1445 Depth=1
                                        ; =>  This Inner Loop Header: Depth=2
	s_sleep 1
	s_clause 0x1
	global_load_dwordx2 v[22:23], v3, s[38:39] offset:40
	global_load_dwordx2 v[28:29], v3, s[38:39]
	v_mov_b32_e32 v24, v26
	v_mov_b32_e32 v25, v27
	s_waitcnt vmcnt(1)
	v_and_b32_e32 v2, v22, v24
	v_and_b32_e32 v22, v23, v25
	s_waitcnt vmcnt(0)
	v_mad_u64_u32 v[26:27], null, v2, 24, v[28:29]
	v_mov_b32_e32 v2, v27
	v_mad_u64_u32 v[22:23], null, v22, 24, v[2:3]
	v_mov_b32_e32 v27, v22
	global_load_dwordx2 v[22:23], v[26:27], off glc dlc
	s_waitcnt vmcnt(0)
	global_atomic_cmpswap_x2 v[26:27], v3, v[22:25], s[38:39] offset:24 glc
	s_waitcnt vmcnt(0)
	buffer_gl1_inv
	buffer_gl0_inv
	v_cmp_eq_u64_e32 vcc_lo, v[26:27], v[24:25]
	s_or_b32 s13, vcc_lo, s13
	s_andn2_b32 exec_lo, exec_lo, s13
	s_cbranch_execnz .LBB6_1497
; %bb.1498:                             ;   in Loop: Header=BB6_1445 Depth=1
	s_or_b32 exec_lo, exec_lo, s13
.LBB6_1499:                             ;   in Loop: Header=BB6_1445 Depth=1
	s_or_b32 exec_lo, exec_lo, s12
.LBB6_1500:                             ;   in Loop: Header=BB6_1445 Depth=1
	s_or_b32 exec_lo, exec_lo, s5
	s_clause 0x1
	global_load_dwordx2 v[28:29], v3, s[38:39] offset:40
	global_load_dwordx4 v[22:25], v3, s[38:39]
	v_readfirstlane_b32 s12, v26
	v_readfirstlane_b32 s13, v27
	s_mov_b32 s5, exec_lo
	s_waitcnt vmcnt(1)
	v_readfirstlane_b32 s14, v28
	v_readfirstlane_b32 s15, v29
	s_and_b64 s[14:15], s[12:13], s[14:15]
	s_mul_i32 s16, s15, 24
	s_mul_hi_u32 s17, s14, 24
	s_mul_i32 s18, s14, 24
	s_add_i32 s17, s17, s16
	s_waitcnt vmcnt(0)
	v_add_co_u32 v26, vcc_lo, v22, s18
	v_add_co_ci_u32_e32 v27, vcc_lo, s17, v23, vcc_lo
	s_and_saveexec_b32 s16, s4
	s_cbranch_execz .LBB6_1502
; %bb.1501:                             ;   in Loop: Header=BB6_1445 Depth=1
	v_mov_b32_e32 v2, s5
	global_store_dwordx4 v[26:27], v[2:5], off offset:8
.LBB6_1502:                             ;   in Loop: Header=BB6_1445 Depth=1
	s_or_b32 exec_lo, exec_lo, s16
	s_lshl_b64 s[14:15], s[14:15], 12
	v_or_b32_e32 v2, 2, v6
	v_add_co_u32 v24, vcc_lo, v24, s14
	v_add_co_ci_u32_e32 v25, vcc_lo, s15, v25, vcc_lo
	v_cmp_gt_u64_e64 vcc_lo, s[8:9], 56
	s_lshl_b32 s5, s10, 2
	v_readfirstlane_b32 s14, v24
	s_add_i32 s5, s5, 28
	v_readfirstlane_b32 s15, v25
	s_and_b32 s5, s5, 0x1e0
	v_cndmask_b32_e32 v2, v2, v6, vcc_lo
	v_and_or_b32 v6, 0xffffff1f, v2, s5
	global_store_dwordx4 v41, v[10:13], s[14:15] offset:16
	global_store_dwordx4 v41, v[6:9], s[14:15]
	global_store_dwordx4 v41, v[14:17], s[14:15] offset:32
	global_store_dwordx4 v41, v[18:21], s[14:15] offset:48
	s_and_saveexec_b32 s5, s4
	s_cbranch_execz .LBB6_1510
; %bb.1503:                             ;   in Loop: Header=BB6_1445 Depth=1
	s_clause 0x1
	global_load_dwordx2 v[14:15], v3, s[38:39] offset:32 glc dlc
	global_load_dwordx2 v[6:7], v3, s[38:39] offset:40
	v_mov_b32_e32 v12, s12
	v_mov_b32_e32 v13, s13
	s_waitcnt vmcnt(0)
	v_readfirstlane_b32 s14, v6
	v_readfirstlane_b32 s15, v7
	s_and_b64 s[14:15], s[14:15], s[12:13]
	s_mul_i32 s15, s15, 24
	s_mul_hi_u32 s16, s14, 24
	s_mul_i32 s14, s14, 24
	s_add_i32 s16, s16, s15
	v_add_co_u32 v10, vcc_lo, v22, s14
	v_add_co_ci_u32_e32 v11, vcc_lo, s16, v23, vcc_lo
	s_mov_b32 s14, exec_lo
	global_store_dwordx2 v[10:11], v[14:15], off
	s_waitcnt_vscnt null, 0x0
	global_atomic_cmpswap_x2 v[8:9], v3, v[12:15], s[38:39] offset:32 glc
	s_waitcnt vmcnt(0)
	v_cmpx_ne_u64_e64 v[8:9], v[14:15]
	s_cbranch_execz .LBB6_1506
; %bb.1504:                             ;   in Loop: Header=BB6_1445 Depth=1
	s_mov_b32 s15, 0
.LBB6_1505:                             ;   Parent Loop BB6_1445 Depth=1
                                        ; =>  This Inner Loop Header: Depth=2
	v_mov_b32_e32 v6, s12
	v_mov_b32_e32 v7, s13
	s_sleep 1
	global_store_dwordx2 v[10:11], v[8:9], off
	s_waitcnt_vscnt null, 0x0
	global_atomic_cmpswap_x2 v[6:7], v3, v[6:9], s[38:39] offset:32 glc
	s_waitcnt vmcnt(0)
	v_cmp_eq_u64_e32 vcc_lo, v[6:7], v[8:9]
	v_mov_b32_e32 v9, v7
	v_mov_b32_e32 v8, v6
	s_or_b32 s15, vcc_lo, s15
	s_andn2_b32 exec_lo, exec_lo, s15
	s_cbranch_execnz .LBB6_1505
.LBB6_1506:                             ;   in Loop: Header=BB6_1445 Depth=1
	s_or_b32 exec_lo, exec_lo, s14
	global_load_dwordx2 v[6:7], v3, s[38:39] offset:16
	s_mov_b32 s15, exec_lo
	s_mov_b32 s14, exec_lo
	v_mbcnt_lo_u32_b32 v2, s15, 0
	v_cmpx_eq_u32_e32 0, v2
	s_cbranch_execz .LBB6_1508
; %bb.1507:                             ;   in Loop: Header=BB6_1445 Depth=1
	s_bcnt1_i32_b32 s15, s15
	v_mov_b32_e32 v2, s15
	s_waitcnt vmcnt(0)
	global_atomic_add_x2 v[6:7], v[2:3], off offset:8
.LBB6_1508:                             ;   in Loop: Header=BB6_1445 Depth=1
	s_or_b32 exec_lo, exec_lo, s14
	s_waitcnt vmcnt(0)
	global_load_dwordx2 v[8:9], v[6:7], off offset:16
	s_waitcnt vmcnt(0)
	v_cmp_eq_u64_e32 vcc_lo, 0, v[8:9]
	s_cbranch_vccnz .LBB6_1510
; %bb.1509:                             ;   in Loop: Header=BB6_1445 Depth=1
	global_load_dword v2, v[6:7], off offset:24
	s_waitcnt vmcnt(0)
	v_and_b32_e32 v6, 0x7fffff, v2
	s_waitcnt_vscnt null, 0x0
	global_store_dwordx2 v[8:9], v[2:3], off
	v_readfirstlane_b32 m0, v6
	s_sendmsg sendmsg(MSG_INTERRUPT)
.LBB6_1510:                             ;   in Loop: Header=BB6_1445 Depth=1
	s_or_b32 exec_lo, exec_lo, s5
	v_add_co_u32 v6, vcc_lo, v24, v41
	v_add_co_ci_u32_e32 v7, vcc_lo, 0, v25, vcc_lo
	s_branch .LBB6_1514
	.p2align	6
.LBB6_1511:                             ;   in Loop: Header=BB6_1514 Depth=2
	s_or_b32 exec_lo, exec_lo, s5
	v_readfirstlane_b32 s5, v2
	s_cmp_eq_u32 s5, 0
	s_cbranch_scc1 .LBB6_1513
; %bb.1512:                             ;   in Loop: Header=BB6_1514 Depth=2
	s_sleep 1
	s_cbranch_execnz .LBB6_1514
	s_branch .LBB6_1516
	.p2align	6
.LBB6_1513:                             ;   in Loop: Header=BB6_1445 Depth=1
	s_branch .LBB6_1516
.LBB6_1514:                             ;   Parent Loop BB6_1445 Depth=1
                                        ; =>  This Inner Loop Header: Depth=2
	v_mov_b32_e32 v2, 1
	s_and_saveexec_b32 s5, s4
	s_cbranch_execz .LBB6_1511
; %bb.1515:                             ;   in Loop: Header=BB6_1514 Depth=2
	global_load_dword v2, v[26:27], off offset:20 glc dlc
	s_waitcnt vmcnt(0)
	buffer_gl1_inv
	buffer_gl0_inv
	v_and_b32_e32 v2, 1, v2
	s_branch .LBB6_1511
.LBB6_1516:                             ;   in Loop: Header=BB6_1445 Depth=1
	global_load_dwordx4 v[6:9], v[6:7], off
	s_and_saveexec_b32 s5, s4
	s_cbranch_execz .LBB6_1444
; %bb.1517:                             ;   in Loop: Header=BB6_1445 Depth=1
	s_clause 0x2
	global_load_dwordx2 v[10:11], v3, s[38:39] offset:40
	global_load_dwordx2 v[14:15], v3, s[38:39] offset:24 glc dlc
	global_load_dwordx2 v[12:13], v3, s[38:39]
	s_waitcnt vmcnt(2)
	v_add_co_u32 v2, vcc_lo, v10, 1
	v_add_co_ci_u32_e32 v16, vcc_lo, 0, v11, vcc_lo
	v_add_co_u32 v8, vcc_lo, v2, s12
	v_add_co_ci_u32_e32 v9, vcc_lo, s13, v16, vcc_lo
	v_cmp_eq_u64_e32 vcc_lo, 0, v[8:9]
	v_cndmask_b32_e32 v9, v9, v16, vcc_lo
	v_cndmask_b32_e32 v8, v8, v2, vcc_lo
	v_and_b32_e32 v2, v9, v11
	v_and_b32_e32 v10, v8, v10
	v_mul_lo_u32 v2, v2, 24
	v_mul_hi_u32 v11, v10, 24
	v_mul_lo_u32 v10, v10, 24
	v_add_nc_u32_e32 v2, v11, v2
	s_waitcnt vmcnt(0)
	v_add_co_u32 v12, vcc_lo, v12, v10
	v_mov_b32_e32 v10, v14
	v_mov_b32_e32 v11, v15
	v_add_co_ci_u32_e32 v13, vcc_lo, v13, v2, vcc_lo
	global_store_dwordx2 v[12:13], v[14:15], off
	s_waitcnt_vscnt null, 0x0
	global_atomic_cmpswap_x2 v[10:11], v3, v[8:11], s[38:39] offset:24 glc
	s_waitcnt vmcnt(0)
	v_cmp_ne_u64_e32 vcc_lo, v[10:11], v[14:15]
	s_and_b32 exec_lo, exec_lo, vcc_lo
	s_cbranch_execz .LBB6_1444
; %bb.1518:                             ;   in Loop: Header=BB6_1445 Depth=1
	s_mov_b32 s4, 0
.LBB6_1519:                             ;   Parent Loop BB6_1445 Depth=1
                                        ; =>  This Inner Loop Header: Depth=2
	s_sleep 1
	global_store_dwordx2 v[12:13], v[10:11], off
	s_waitcnt_vscnt null, 0x0
	global_atomic_cmpswap_x2 v[14:15], v3, v[8:11], s[38:39] offset:24 glc
	s_waitcnt vmcnt(0)
	v_cmp_eq_u64_e32 vcc_lo, v[14:15], v[10:11]
	v_mov_b32_e32 v10, v14
	v_mov_b32_e32 v11, v15
	s_or_b32 s4, vcc_lo, s4
	s_andn2_b32 exec_lo, exec_lo, s4
	s_cbranch_execnz .LBB6_1519
	s_branch .LBB6_1444
.LBB6_1520:
	s_mov_b32 s4, 0
	s_branch .LBB6_1522
.LBB6_1521:
	s_mov_b32 s4, -1
.LBB6_1522:
	s_and_b32 vcc_lo, exec_lo, s4
	s_cbranch_vccz .LBB6_1550
; %bb.1523:
	v_readfirstlane_b32 s4, v42
	s_waitcnt vmcnt(0)
	v_mov_b32_e32 v8, 0
	v_mov_b32_e32 v9, 0
	v_cmp_eq_u32_e64 s4, s4, v42
	s_and_saveexec_b32 s5, s4
	s_cbranch_execz .LBB6_1529
; %bb.1524:
	v_mov_b32_e32 v2, 0
	s_mov_b32 s6, exec_lo
	global_load_dwordx2 v[5:6], v2, s[38:39] offset:24 glc dlc
	s_waitcnt vmcnt(0)
	buffer_gl1_inv
	buffer_gl0_inv
	s_clause 0x1
	global_load_dwordx2 v[3:4], v2, s[38:39] offset:40
	global_load_dwordx2 v[7:8], v2, s[38:39]
	s_waitcnt vmcnt(1)
	v_and_b32_e32 v4, v4, v6
	v_and_b32_e32 v3, v3, v5
	v_mul_lo_u32 v4, v4, 24
	v_mul_hi_u32 v9, v3, 24
	v_mul_lo_u32 v3, v3, 24
	v_add_nc_u32_e32 v4, v9, v4
	s_waitcnt vmcnt(0)
	v_add_co_u32 v3, vcc_lo, v7, v3
	v_add_co_ci_u32_e32 v4, vcc_lo, v8, v4, vcc_lo
	global_load_dwordx2 v[3:4], v[3:4], off glc dlc
	s_waitcnt vmcnt(0)
	global_atomic_cmpswap_x2 v[8:9], v2, v[3:6], s[38:39] offset:24 glc
	s_waitcnt vmcnt(0)
	buffer_gl1_inv
	buffer_gl0_inv
	v_cmpx_ne_u64_e64 v[8:9], v[5:6]
	s_cbranch_execz .LBB6_1528
; %bb.1525:
	s_mov_b32 s7, 0
.LBB6_1526:                             ; =>This Inner Loop Header: Depth=1
	s_sleep 1
	s_clause 0x1
	global_load_dwordx2 v[3:4], v2, s[38:39] offset:40
	global_load_dwordx2 v[10:11], v2, s[38:39]
	v_mov_b32_e32 v5, v8
	v_mov_b32_e32 v6, v9
	s_waitcnt vmcnt(1)
	v_and_b32_e32 v3, v3, v5
	v_and_b32_e32 v4, v4, v6
	s_waitcnt vmcnt(0)
	v_mad_u64_u32 v[7:8], null, v3, 24, v[10:11]
	v_mov_b32_e32 v3, v8
	v_mad_u64_u32 v[3:4], null, v4, 24, v[3:4]
	v_mov_b32_e32 v8, v3
	global_load_dwordx2 v[3:4], v[7:8], off glc dlc
	s_waitcnt vmcnt(0)
	global_atomic_cmpswap_x2 v[8:9], v2, v[3:6], s[38:39] offset:24 glc
	s_waitcnt vmcnt(0)
	buffer_gl1_inv
	buffer_gl0_inv
	v_cmp_eq_u64_e32 vcc_lo, v[8:9], v[5:6]
	s_or_b32 s7, vcc_lo, s7
	s_andn2_b32 exec_lo, exec_lo, s7
	s_cbranch_execnz .LBB6_1526
; %bb.1527:
	s_or_b32 exec_lo, exec_lo, s7
.LBB6_1528:
	s_or_b32 exec_lo, exec_lo, s6
.LBB6_1529:
	s_or_b32 exec_lo, exec_lo, s5
	v_mov_b32_e32 v2, 0
	v_readfirstlane_b32 s6, v8
	v_readfirstlane_b32 s7, v9
	s_mov_b32 s5, exec_lo
	s_clause 0x1
	global_load_dwordx2 v[10:11], v2, s[38:39] offset:40
	global_load_dwordx4 v[4:7], v2, s[38:39]
	s_waitcnt vmcnt(1)
	v_readfirstlane_b32 s8, v10
	v_readfirstlane_b32 s9, v11
	s_and_b64 s[8:9], s[6:7], s[8:9]
	s_mul_i32 s10, s9, 24
	s_mul_hi_u32 s11, s8, 24
	s_mul_i32 s12, s8, 24
	s_add_i32 s11, s11, s10
	s_waitcnt vmcnt(0)
	v_add_co_u32 v8, vcc_lo, v4, s12
	v_add_co_ci_u32_e32 v9, vcc_lo, s11, v5, vcc_lo
	s_and_saveexec_b32 s10, s4
	s_cbranch_execz .LBB6_1531
; %bb.1530:
	v_mov_b32_e32 v10, s5
	v_mov_b32_e32 v11, v2
	;; [unrolled: 1-line block ×4, first 2 shown]
	global_store_dwordx4 v[8:9], v[10:13], off offset:8
.LBB6_1531:
	s_or_b32 exec_lo, exec_lo, s10
	s_lshl_b64 s[8:9], s[8:9], 12
	v_and_or_b32 v0, 0xffffff1d, v0, 34
	v_add_co_u32 v6, vcc_lo, v6, s8
	v_add_co_ci_u32_e32 v7, vcc_lo, s9, v7, vcc_lo
	s_mov_b32 s8, 0
	v_mov_b32_e32 v3, v2
	s_mov_b32 s11, s8
	s_mov_b32 s9, s8
	;; [unrolled: 1-line block ×3, first 2 shown]
	v_readfirstlane_b32 s12, v6
	v_readfirstlane_b32 s13, v7
	v_mov_b32_e32 v13, s11
	v_mov_b32_e32 v12, s10
	;; [unrolled: 1-line block ×4, first 2 shown]
	global_store_dwordx4 v41, v[0:3], s[12:13]
	global_store_dwordx4 v41, v[10:13], s[12:13] offset:16
	global_store_dwordx4 v41, v[10:13], s[12:13] offset:32
	;; [unrolled: 1-line block ×3, first 2 shown]
	s_and_saveexec_b32 s5, s4
	s_cbranch_execz .LBB6_1539
; %bb.1532:
	v_mov_b32_e32 v6, 0
	v_mov_b32_e32 v10, s6
	v_mov_b32_e32 v11, s7
	s_clause 0x1
	global_load_dwordx2 v[12:13], v6, s[38:39] offset:32 glc dlc
	global_load_dwordx2 v[0:1], v6, s[38:39] offset:40
	s_waitcnt vmcnt(0)
	v_readfirstlane_b32 s8, v0
	v_readfirstlane_b32 s9, v1
	s_and_b64 s[8:9], s[8:9], s[6:7]
	s_mul_i32 s9, s9, 24
	s_mul_hi_u32 s10, s8, 24
	s_mul_i32 s8, s8, 24
	s_add_i32 s10, s10, s9
	v_add_co_u32 v4, vcc_lo, v4, s8
	v_add_co_ci_u32_e32 v5, vcc_lo, s10, v5, vcc_lo
	s_mov_b32 s8, exec_lo
	global_store_dwordx2 v[4:5], v[12:13], off
	s_waitcnt_vscnt null, 0x0
	global_atomic_cmpswap_x2 v[2:3], v6, v[10:13], s[38:39] offset:32 glc
	s_waitcnt vmcnt(0)
	v_cmpx_ne_u64_e64 v[2:3], v[12:13]
	s_cbranch_execz .LBB6_1535
; %bb.1533:
	s_mov_b32 s9, 0
.LBB6_1534:                             ; =>This Inner Loop Header: Depth=1
	v_mov_b32_e32 v0, s6
	v_mov_b32_e32 v1, s7
	s_sleep 1
	global_store_dwordx2 v[4:5], v[2:3], off
	s_waitcnt_vscnt null, 0x0
	global_atomic_cmpswap_x2 v[0:1], v6, v[0:3], s[38:39] offset:32 glc
	s_waitcnt vmcnt(0)
	v_cmp_eq_u64_e32 vcc_lo, v[0:1], v[2:3]
	v_mov_b32_e32 v3, v1
	v_mov_b32_e32 v2, v0
	s_or_b32 s9, vcc_lo, s9
	s_andn2_b32 exec_lo, exec_lo, s9
	s_cbranch_execnz .LBB6_1534
.LBB6_1535:
	s_or_b32 exec_lo, exec_lo, s8
	v_mov_b32_e32 v3, 0
	s_mov_b32 s9, exec_lo
	s_mov_b32 s8, exec_lo
	v_mbcnt_lo_u32_b32 v2, s9, 0
	global_load_dwordx2 v[0:1], v3, s[38:39] offset:16
	v_cmpx_eq_u32_e32 0, v2
	s_cbranch_execz .LBB6_1537
; %bb.1536:
	s_bcnt1_i32_b32 s9, s9
	v_mov_b32_e32 v2, s9
	s_waitcnt vmcnt(0)
	global_atomic_add_x2 v[0:1], v[2:3], off offset:8
.LBB6_1537:
	s_or_b32 exec_lo, exec_lo, s8
	s_waitcnt vmcnt(0)
	global_load_dwordx2 v[2:3], v[0:1], off offset:16
	s_waitcnt vmcnt(0)
	v_cmp_eq_u64_e32 vcc_lo, 0, v[2:3]
	s_cbranch_vccnz .LBB6_1539
; %bb.1538:
	global_load_dword v0, v[0:1], off offset:24
	v_mov_b32_e32 v1, 0
	s_waitcnt vmcnt(0)
	v_and_b32_e32 v4, 0x7fffff, v0
	s_waitcnt_vscnt null, 0x0
	global_store_dwordx2 v[2:3], v[0:1], off
	v_readfirstlane_b32 m0, v4
	s_sendmsg sendmsg(MSG_INTERRUPT)
.LBB6_1539:
	s_or_b32 exec_lo, exec_lo, s5
	s_branch .LBB6_1543
	.p2align	6
.LBB6_1540:                             ;   in Loop: Header=BB6_1543 Depth=1
	s_or_b32 exec_lo, exec_lo, s5
	v_readfirstlane_b32 s5, v0
	s_cmp_eq_u32 s5, 0
	s_cbranch_scc1 .LBB6_1542
; %bb.1541:                             ;   in Loop: Header=BB6_1543 Depth=1
	s_sleep 1
	s_cbranch_execnz .LBB6_1543
	s_branch .LBB6_1545
.LBB6_1542:
	s_branch .LBB6_1545
.LBB6_1543:                             ; =>This Inner Loop Header: Depth=1
	v_mov_b32_e32 v0, 1
	s_and_saveexec_b32 s5, s4
	s_cbranch_execz .LBB6_1540
; %bb.1544:                             ;   in Loop: Header=BB6_1543 Depth=1
	global_load_dword v0, v[8:9], off offset:20 glc dlc
	s_waitcnt vmcnt(0)
	buffer_gl1_inv
	buffer_gl0_inv
	v_and_b32_e32 v0, 1, v0
	s_branch .LBB6_1540
.LBB6_1545:
	s_and_saveexec_b32 s5, s4
	s_cbranch_execz .LBB6_1549
; %bb.1546:
	v_mov_b32_e32 v6, 0
	s_clause 0x2
	global_load_dwordx2 v[2:3], v6, s[38:39] offset:40
	global_load_dwordx2 v[7:8], v6, s[38:39] offset:24 glc dlc
	global_load_dwordx2 v[4:5], v6, s[38:39]
	s_waitcnt vmcnt(2)
	v_add_co_u32 v9, vcc_lo, v2, 1
	v_add_co_ci_u32_e32 v10, vcc_lo, 0, v3, vcc_lo
	v_add_co_u32 v0, vcc_lo, v9, s6
	v_add_co_ci_u32_e32 v1, vcc_lo, s7, v10, vcc_lo
	v_cmp_eq_u64_e32 vcc_lo, 0, v[0:1]
	v_cndmask_b32_e32 v1, v1, v10, vcc_lo
	v_cndmask_b32_e32 v0, v0, v9, vcc_lo
	v_and_b32_e32 v3, v1, v3
	v_and_b32_e32 v2, v0, v2
	v_mul_lo_u32 v3, v3, 24
	v_mul_hi_u32 v9, v2, 24
	v_mul_lo_u32 v2, v2, 24
	v_add_nc_u32_e32 v3, v9, v3
	s_waitcnt vmcnt(0)
	v_add_co_u32 v4, vcc_lo, v4, v2
	v_mov_b32_e32 v2, v7
	v_add_co_ci_u32_e32 v5, vcc_lo, v5, v3, vcc_lo
	v_mov_b32_e32 v3, v8
	global_store_dwordx2 v[4:5], v[7:8], off
	s_waitcnt_vscnt null, 0x0
	global_atomic_cmpswap_x2 v[2:3], v6, v[0:3], s[38:39] offset:24 glc
	s_waitcnt vmcnt(0)
	v_cmp_ne_u64_e32 vcc_lo, v[2:3], v[7:8]
	s_and_b32 exec_lo, exec_lo, vcc_lo
	s_cbranch_execz .LBB6_1549
; %bb.1547:
	s_mov_b32 s4, 0
.LBB6_1548:                             ; =>This Inner Loop Header: Depth=1
	s_sleep 1
	global_store_dwordx2 v[4:5], v[2:3], off
	s_waitcnt_vscnt null, 0x0
	global_atomic_cmpswap_x2 v[7:8], v6, v[0:3], s[38:39] offset:24 glc
	s_waitcnt vmcnt(0)
	v_cmp_eq_u64_e32 vcc_lo, v[7:8], v[2:3]
	v_mov_b32_e32 v2, v7
	v_mov_b32_e32 v3, v8
	s_or_b32 s4, vcc_lo, s4
	s_andn2_b32 exec_lo, exec_lo, s4
	s_cbranch_execnz .LBB6_1548
.LBB6_1549:
	s_or_b32 exec_lo, exec_lo, s5
.LBB6_1550:
	s_add_u32 s36, s48, 16
	s_addc_u32 s37, s49, 0
	s_getpc_b64 s[4:5]
	s_add_u32 s4, s4, .str.4@rel32@lo+4
	s_addc_u32 s5, s5, .str.4@rel32@hi+12
	s_waitcnt vmcnt(0)
	v_mov_b32_e32 v0, s4
	v_mov_b32_e32 v1, s5
	s_mov_b64 s[8:9], s[36:37]
	s_mov_b64 s[22:23], src_private_base
	s_getpc_b64 s[44:45]
	s_add_u32 s44, s44, _ZNK8migraphx13basic_printerIZNS_4coutEvEUlT_E_ElsEPKc@rel32@lo+4
	s_addc_u32 s45, s45, _ZNK8migraphx13basic_printerIZNS_4coutEvEUlT_E_ElsEPKc@rel32@hi+12
	s_swappc_b64 s[30:31], s[44:45]
	s_getpc_b64 s[4:5]
	s_add_u32 s4, s4, .str.6@rel32@lo+4
	s_addc_u32 s5, s5, .str.6@rel32@hi+12
	v_mov_b32_e32 v0, s4
	v_mov_b32_e32 v1, s5
	s_mov_b64 s[8:9], s[36:37]
	s_swappc_b64 s[30:31], s[44:45]
	v_mov_b32_e32 v0, 16
	v_mov_b32_e32 v1, s23
	s_mov_b64 s[8:9], s[36:37]
	s_getpc_b64 s[4:5]
	s_add_u32 s4, s4, _ZN8migraphx4testlsIKNS_13basic_printerIZNS_4coutEvEUlT_E_EEEERS3_S7_RKNS0_10expressionINS0_14lhs_expressionIRiNS0_3nopEEEiNS0_5equalEEE@rel32@lo+4
	s_addc_u32 s5, s5, _ZN8migraphx4testlsIKNS_13basic_printerIZNS_4coutEvEUlT_E_EEEERS3_S7_RKNS0_10expressionINS0_14lhs_expressionIRiNS0_3nopEEEiNS0_5equalEEE@rel32@hi+12
	s_swappc_b64 s[30:31], s[4:5]
	s_getpc_b64 s[4:5]
	s_add_u32 s4, s4, .str.7@rel32@lo+4
	s_addc_u32 s5, s5, .str.7@rel32@hi+12
	v_mov_b32_e32 v0, s4
	v_mov_b32_e32 v1, s5
	s_mov_b64 s[8:9], s[36:37]
	s_swappc_b64 s[30:31], s[44:45]
	v_readfirstlane_b32 s4, v42
	v_mov_b32_e32 v6, 0
	v_mov_b32_e32 v7, 0
	v_cmp_eq_u32_e64 s4, s4, v42
	s_and_saveexec_b32 s5, s4
	s_cbranch_execz .LBB6_1556
; %bb.1551:
	v_mov_b32_e32 v0, 0
	s_mov_b32 s6, exec_lo
	global_load_dwordx2 v[3:4], v0, s[38:39] offset:24 glc dlc
	s_waitcnt vmcnt(0)
	buffer_gl1_inv
	buffer_gl0_inv
	s_clause 0x1
	global_load_dwordx2 v[1:2], v0, s[38:39] offset:40
	global_load_dwordx2 v[5:6], v0, s[38:39]
	s_waitcnt vmcnt(1)
	v_and_b32_e32 v2, v2, v4
	v_and_b32_e32 v1, v1, v3
	v_mul_lo_u32 v2, v2, 24
	v_mul_hi_u32 v7, v1, 24
	v_mul_lo_u32 v1, v1, 24
	v_add_nc_u32_e32 v2, v7, v2
	s_waitcnt vmcnt(0)
	v_add_co_u32 v1, vcc_lo, v5, v1
	v_add_co_ci_u32_e32 v2, vcc_lo, v6, v2, vcc_lo
	global_load_dwordx2 v[1:2], v[1:2], off glc dlc
	s_waitcnt vmcnt(0)
	global_atomic_cmpswap_x2 v[6:7], v0, v[1:4], s[38:39] offset:24 glc
	s_waitcnt vmcnt(0)
	buffer_gl1_inv
	buffer_gl0_inv
	v_cmpx_ne_u64_e64 v[6:7], v[3:4]
	s_cbranch_execz .LBB6_1555
; %bb.1552:
	s_mov_b32 s7, 0
.LBB6_1553:                             ; =>This Inner Loop Header: Depth=1
	s_sleep 1
	s_clause 0x1
	global_load_dwordx2 v[1:2], v0, s[38:39] offset:40
	global_load_dwordx2 v[8:9], v0, s[38:39]
	v_mov_b32_e32 v3, v6
	v_mov_b32_e32 v4, v7
	s_waitcnt vmcnt(1)
	v_and_b32_e32 v1, v1, v3
	v_and_b32_e32 v2, v2, v4
	s_waitcnt vmcnt(0)
	v_mad_u64_u32 v[5:6], null, v1, 24, v[8:9]
	v_mov_b32_e32 v1, v6
	v_mad_u64_u32 v[1:2], null, v2, 24, v[1:2]
	v_mov_b32_e32 v6, v1
	global_load_dwordx2 v[1:2], v[5:6], off glc dlc
	s_waitcnt vmcnt(0)
	global_atomic_cmpswap_x2 v[6:7], v0, v[1:4], s[38:39] offset:24 glc
	s_waitcnt vmcnt(0)
	buffer_gl1_inv
	buffer_gl0_inv
	v_cmp_eq_u64_e32 vcc_lo, v[6:7], v[3:4]
	s_or_b32 s7, vcc_lo, s7
	s_andn2_b32 exec_lo, exec_lo, s7
	s_cbranch_execnz .LBB6_1553
; %bb.1554:
	s_or_b32 exec_lo, exec_lo, s7
.LBB6_1555:
	s_or_b32 exec_lo, exec_lo, s6
.LBB6_1556:
	s_or_b32 exec_lo, exec_lo, s5
	v_mov_b32_e32 v5, 0
	v_readfirstlane_b32 s6, v6
	v_readfirstlane_b32 s7, v7
	s_mov_b32 s5, exec_lo
	s_clause 0x1
	global_load_dwordx2 v[8:9], v5, s[38:39] offset:40
	global_load_dwordx4 v[0:3], v5, s[38:39]
	s_waitcnt vmcnt(1)
	v_readfirstlane_b32 s8, v8
	v_readfirstlane_b32 s9, v9
	s_and_b64 s[8:9], s[6:7], s[8:9]
	s_mul_i32 s10, s9, 24
	s_mul_hi_u32 s11, s8, 24
	s_mul_i32 s12, s8, 24
	s_add_i32 s11, s11, s10
	s_waitcnt vmcnt(0)
	v_add_co_u32 v8, vcc_lo, v0, s12
	v_add_co_ci_u32_e32 v9, vcc_lo, s11, v1, vcc_lo
	s_and_saveexec_b32 s10, s4
	s_cbranch_execz .LBB6_1558
; %bb.1557:
	v_mov_b32_e32 v4, s5
	v_mov_b32_e32 v6, 2
	;; [unrolled: 1-line block ×3, first 2 shown]
	global_store_dwordx4 v[8:9], v[4:7], off offset:8
.LBB6_1558:
	s_or_b32 exec_lo, exec_lo, s10
	s_lshl_b64 s[8:9], s[8:9], 12
	v_mov_b32_e32 v4, 33
	v_add_co_u32 v2, vcc_lo, v2, s8
	v_add_co_ci_u32_e32 v3, vcc_lo, s9, v3, vcc_lo
	s_mov_b32 s8, 0
	v_add_co_u32 v10, vcc_lo, v2, v41
	s_mov_b32 s11, s8
	s_mov_b32 s9, s8
	;; [unrolled: 1-line block ×3, first 2 shown]
	v_mov_b32_e32 v6, v5
	v_mov_b32_e32 v7, v5
	v_readfirstlane_b32 s12, v2
	v_readfirstlane_b32 s13, v3
	v_mov_b32_e32 v15, s11
	v_add_co_ci_u32_e32 v11, vcc_lo, 0, v3, vcc_lo
	v_mov_b32_e32 v14, s10
	v_mov_b32_e32 v13, s9
	;; [unrolled: 1-line block ×3, first 2 shown]
	global_store_dwordx4 v41, v[4:7], s[12:13]
	global_store_dwordx4 v41, v[12:15], s[12:13] offset:16
	global_store_dwordx4 v41, v[12:15], s[12:13] offset:32
	;; [unrolled: 1-line block ×3, first 2 shown]
	s_and_saveexec_b32 s5, s4
	s_cbranch_execz .LBB6_1566
; %bb.1559:
	v_mov_b32_e32 v6, 0
	v_mov_b32_e32 v12, s6
	;; [unrolled: 1-line block ×3, first 2 shown]
	s_clause 0x1
	global_load_dwordx2 v[14:15], v6, s[38:39] offset:32 glc dlc
	global_load_dwordx2 v[2:3], v6, s[38:39] offset:40
	s_waitcnt vmcnt(0)
	v_readfirstlane_b32 s8, v2
	v_readfirstlane_b32 s9, v3
	s_and_b64 s[8:9], s[8:9], s[6:7]
	s_mul_i32 s9, s9, 24
	s_mul_hi_u32 s10, s8, 24
	s_mul_i32 s8, s8, 24
	s_add_i32 s10, s10, s9
	v_add_co_u32 v4, vcc_lo, v0, s8
	v_add_co_ci_u32_e32 v5, vcc_lo, s10, v1, vcc_lo
	s_mov_b32 s8, exec_lo
	global_store_dwordx2 v[4:5], v[14:15], off
	s_waitcnt_vscnt null, 0x0
	global_atomic_cmpswap_x2 v[2:3], v6, v[12:15], s[38:39] offset:32 glc
	s_waitcnt vmcnt(0)
	v_cmpx_ne_u64_e64 v[2:3], v[14:15]
	s_cbranch_execz .LBB6_1562
; %bb.1560:
	s_mov_b32 s9, 0
.LBB6_1561:                             ; =>This Inner Loop Header: Depth=1
	v_mov_b32_e32 v0, s6
	v_mov_b32_e32 v1, s7
	s_sleep 1
	global_store_dwordx2 v[4:5], v[2:3], off
	s_waitcnt_vscnt null, 0x0
	global_atomic_cmpswap_x2 v[0:1], v6, v[0:3], s[38:39] offset:32 glc
	s_waitcnt vmcnt(0)
	v_cmp_eq_u64_e32 vcc_lo, v[0:1], v[2:3]
	v_mov_b32_e32 v3, v1
	v_mov_b32_e32 v2, v0
	s_or_b32 s9, vcc_lo, s9
	s_andn2_b32 exec_lo, exec_lo, s9
	s_cbranch_execnz .LBB6_1561
.LBB6_1562:
	s_or_b32 exec_lo, exec_lo, s8
	v_mov_b32_e32 v3, 0
	s_mov_b32 s9, exec_lo
	s_mov_b32 s8, exec_lo
	v_mbcnt_lo_u32_b32 v2, s9, 0
	global_load_dwordx2 v[0:1], v3, s[38:39] offset:16
	v_cmpx_eq_u32_e32 0, v2
	s_cbranch_execz .LBB6_1564
; %bb.1563:
	s_bcnt1_i32_b32 s9, s9
	v_mov_b32_e32 v2, s9
	s_waitcnt vmcnt(0)
	global_atomic_add_x2 v[0:1], v[2:3], off offset:8
.LBB6_1564:
	s_or_b32 exec_lo, exec_lo, s8
	s_waitcnt vmcnt(0)
	global_load_dwordx2 v[2:3], v[0:1], off offset:16
	s_waitcnt vmcnt(0)
	v_cmp_eq_u64_e32 vcc_lo, 0, v[2:3]
	s_cbranch_vccnz .LBB6_1566
; %bb.1565:
	global_load_dword v0, v[0:1], off offset:24
	v_mov_b32_e32 v1, 0
	s_waitcnt vmcnt(0)
	v_and_b32_e32 v4, 0x7fffff, v0
	s_waitcnt_vscnt null, 0x0
	global_store_dwordx2 v[2:3], v[0:1], off
	v_readfirstlane_b32 m0, v4
	s_sendmsg sendmsg(MSG_INTERRUPT)
.LBB6_1566:
	s_or_b32 exec_lo, exec_lo, s5
	s_branch .LBB6_1570
	.p2align	6
.LBB6_1567:                             ;   in Loop: Header=BB6_1570 Depth=1
	s_or_b32 exec_lo, exec_lo, s5
	v_readfirstlane_b32 s5, v0
	s_cmp_eq_u32 s5, 0
	s_cbranch_scc1 .LBB6_1569
; %bb.1568:                             ;   in Loop: Header=BB6_1570 Depth=1
	s_sleep 1
	s_cbranch_execnz .LBB6_1570
	s_branch .LBB6_1572
	.p2align	6
.LBB6_1569:
	s_branch .LBB6_1572
.LBB6_1570:                             ; =>This Inner Loop Header: Depth=1
	v_mov_b32_e32 v0, 1
	s_and_saveexec_b32 s5, s4
	s_cbranch_execz .LBB6_1567
; %bb.1571:                             ;   in Loop: Header=BB6_1570 Depth=1
	global_load_dword v0, v[8:9], off offset:20 glc dlc
	s_waitcnt vmcnt(0)
	buffer_gl1_inv
	buffer_gl0_inv
	v_and_b32_e32 v0, 1, v0
	s_branch .LBB6_1567
.LBB6_1572:
	global_load_dwordx2 v[0:1], v[10:11], off
	s_and_saveexec_b32 s5, s4
	s_cbranch_execz .LBB6_1576
; %bb.1573:
	v_mov_b32_e32 v8, 0
	s_clause 0x2
	global_load_dwordx2 v[4:5], v8, s[38:39] offset:40
	global_load_dwordx2 v[9:10], v8, s[38:39] offset:24 glc dlc
	global_load_dwordx2 v[6:7], v8, s[38:39]
	s_waitcnt vmcnt(2)
	v_add_co_u32 v11, vcc_lo, v4, 1
	v_add_co_ci_u32_e32 v12, vcc_lo, 0, v5, vcc_lo
	v_add_co_u32 v2, vcc_lo, v11, s6
	v_add_co_ci_u32_e32 v3, vcc_lo, s7, v12, vcc_lo
	v_cmp_eq_u64_e32 vcc_lo, 0, v[2:3]
	v_cndmask_b32_e32 v3, v3, v12, vcc_lo
	v_cndmask_b32_e32 v2, v2, v11, vcc_lo
	v_and_b32_e32 v5, v3, v5
	v_and_b32_e32 v4, v2, v4
	v_mul_lo_u32 v5, v5, 24
	v_mul_hi_u32 v11, v4, 24
	v_mul_lo_u32 v4, v4, 24
	v_add_nc_u32_e32 v5, v11, v5
	s_waitcnt vmcnt(0)
	v_add_co_u32 v6, vcc_lo, v6, v4
	v_mov_b32_e32 v4, v9
	v_add_co_ci_u32_e32 v7, vcc_lo, v7, v5, vcc_lo
	v_mov_b32_e32 v5, v10
	global_store_dwordx2 v[6:7], v[9:10], off
	s_waitcnt_vscnt null, 0x0
	global_atomic_cmpswap_x2 v[4:5], v8, v[2:5], s[38:39] offset:24 glc
	s_waitcnt vmcnt(0)
	v_cmp_ne_u64_e32 vcc_lo, v[4:5], v[9:10]
	s_and_b32 exec_lo, exec_lo, vcc_lo
	s_cbranch_execz .LBB6_1576
; %bb.1574:
	s_mov_b32 s4, 0
.LBB6_1575:                             ; =>This Inner Loop Header: Depth=1
	s_sleep 1
	global_store_dwordx2 v[6:7], v[4:5], off
	s_waitcnt_vscnt null, 0x0
	global_atomic_cmpswap_x2 v[9:10], v8, v[2:5], s[38:39] offset:24 glc
	s_waitcnt vmcnt(0)
	v_cmp_eq_u64_e32 vcc_lo, v[9:10], v[4:5]
	v_mov_b32_e32 v4, v9
	v_mov_b32_e32 v5, v10
	s_or_b32 s4, vcc_lo, s4
	s_andn2_b32 exec_lo, exec_lo, s4
	s_cbranch_execnz .LBB6_1575
.LBB6_1576:
	s_or_b32 exec_lo, exec_lo, s5
	s_and_b32 vcc_lo, exec_lo, s42
	s_cbranch_vccz .LBB6_1655
; %bb.1577:
	s_waitcnt vmcnt(0)
	v_and_b32_e32 v31, 2, v0
	v_mov_b32_e32 v6, 0
	v_and_b32_e32 v2, -3, v0
	v_mov_b32_e32 v3, v1
	v_mov_b32_e32 v7, 2
	;; [unrolled: 1-line block ×3, first 2 shown]
	s_mov_b64 s[8:9], 3
	s_getpc_b64 s[6:7]
	s_add_u32 s6, s6, .str.9@rel32@lo+4
	s_addc_u32 s7, s7, .str.9@rel32@hi+12
	s_branch .LBB6_1579
.LBB6_1578:                             ;   in Loop: Header=BB6_1579 Depth=1
	s_or_b32 exec_lo, exec_lo, s5
	s_sub_u32 s8, s8, s10
	s_subb_u32 s9, s9, s11
	s_add_u32 s6, s6, s10
	s_addc_u32 s7, s7, s11
	s_cmp_lg_u64 s[8:9], 0
	s_cbranch_scc0 .LBB6_1654
.LBB6_1579:                             ; =>This Loop Header: Depth=1
                                        ;     Child Loop BB6_1588 Depth 2
                                        ;     Child Loop BB6_1584 Depth 2
	;; [unrolled: 1-line block ×11, first 2 shown]
	v_cmp_lt_u64_e64 s4, s[8:9], 56
	v_cmp_gt_u64_e64 s5, s[8:9], 7
                                        ; implicit-def: $vgpr11_vgpr12
                                        ; implicit-def: $sgpr16
	s_and_b32 s4, s4, exec_lo
	s_cselect_b32 s11, s9, 0
	s_cselect_b32 s10, s8, 56
	s_and_b32 vcc_lo, exec_lo, s5
	s_mov_b32 s4, -1
	s_cbranch_vccz .LBB6_1586
; %bb.1580:                             ;   in Loop: Header=BB6_1579 Depth=1
	s_andn2_b32 vcc_lo, exec_lo, s4
	s_mov_b64 s[4:5], s[6:7]
	s_cbranch_vccz .LBB6_1590
.LBB6_1581:                             ;   in Loop: Header=BB6_1579 Depth=1
	s_cmp_gt_u32 s16, 7
	s_cbranch_scc1 .LBB6_1591
.LBB6_1582:                             ;   in Loop: Header=BB6_1579 Depth=1
	v_mov_b32_e32 v13, 0
	v_mov_b32_e32 v14, 0
	s_cmp_eq_u32 s16, 0
	s_cbranch_scc1 .LBB6_1585
; %bb.1583:                             ;   in Loop: Header=BB6_1579 Depth=1
	s_mov_b64 s[12:13], 0
	s_mov_b64 s[14:15], 0
.LBB6_1584:                             ;   Parent Loop BB6_1579 Depth=1
                                        ; =>  This Inner Loop Header: Depth=2
	s_add_u32 s18, s4, s14
	s_addc_u32 s19, s5, s15
	s_add_u32 s14, s14, 1
	global_load_ubyte v4, v6, s[18:19]
	s_addc_u32 s15, s15, 0
	s_waitcnt vmcnt(0)
	v_and_b32_e32 v5, 0xffff, v4
	v_lshlrev_b64 v[4:5], s12, v[5:6]
	s_add_u32 s12, s12, 8
	s_addc_u32 s13, s13, 0
	s_cmp_lg_u32 s16, s14
	v_or_b32_e32 v13, v4, v13
	v_or_b32_e32 v14, v5, v14
	s_cbranch_scc1 .LBB6_1584
.LBB6_1585:                             ;   in Loop: Header=BB6_1579 Depth=1
	s_mov_b32 s17, 0
	s_cbranch_execz .LBB6_1592
	s_branch .LBB6_1593
.LBB6_1586:                             ;   in Loop: Header=BB6_1579 Depth=1
	v_mov_b32_e32 v11, 0
	v_mov_b32_e32 v12, 0
	s_cmp_eq_u64 s[8:9], 0
	s_mov_b64 s[4:5], 0
	s_cbranch_scc1 .LBB6_1589
; %bb.1587:                             ;   in Loop: Header=BB6_1579 Depth=1
	v_mov_b32_e32 v11, 0
	v_mov_b32_e32 v12, 0
	s_lshl_b64 s[12:13], s[10:11], 3
	s_mov_b64 s[14:15], s[6:7]
.LBB6_1588:                             ;   Parent Loop BB6_1579 Depth=1
                                        ; =>  This Inner Loop Header: Depth=2
	global_load_ubyte v4, v6, s[14:15]
	s_waitcnt vmcnt(0)
	v_and_b32_e32 v5, 0xffff, v4
	v_lshlrev_b64 v[4:5], s4, v[5:6]
	s_add_u32 s4, s4, 8
	s_addc_u32 s5, s5, 0
	s_add_u32 s14, s14, 1
	s_addc_u32 s15, s15, 0
	s_cmp_lg_u32 s12, s4
	v_or_b32_e32 v11, v4, v11
	v_or_b32_e32 v12, v5, v12
	s_cbranch_scc1 .LBB6_1588
.LBB6_1589:                             ;   in Loop: Header=BB6_1579 Depth=1
	s_mov_b32 s16, 0
	s_mov_b64 s[4:5], s[6:7]
	s_cbranch_execnz .LBB6_1581
.LBB6_1590:                             ;   in Loop: Header=BB6_1579 Depth=1
	global_load_dwordx2 v[11:12], v6, s[6:7]
	s_add_i32 s16, s10, -8
	s_add_u32 s4, s6, 8
	s_addc_u32 s5, s7, 0
	s_cmp_gt_u32 s16, 7
	s_cbranch_scc0 .LBB6_1582
.LBB6_1591:                             ;   in Loop: Header=BB6_1579 Depth=1
                                        ; implicit-def: $vgpr13_vgpr14
                                        ; implicit-def: $sgpr17
.LBB6_1592:                             ;   in Loop: Header=BB6_1579 Depth=1
	global_load_dwordx2 v[13:14], v6, s[4:5]
	s_add_i32 s17, s16, -8
	s_add_u32 s4, s4, 8
	s_addc_u32 s5, s5, 0
.LBB6_1593:                             ;   in Loop: Header=BB6_1579 Depth=1
	s_cmp_gt_u32 s17, 7
	s_cbranch_scc1 .LBB6_1598
; %bb.1594:                             ;   in Loop: Header=BB6_1579 Depth=1
	v_mov_b32_e32 v15, 0
	v_mov_b32_e32 v16, 0
	s_cmp_eq_u32 s17, 0
	s_cbranch_scc1 .LBB6_1597
; %bb.1595:                             ;   in Loop: Header=BB6_1579 Depth=1
	s_mov_b64 s[12:13], 0
	s_mov_b64 s[14:15], 0
.LBB6_1596:                             ;   Parent Loop BB6_1579 Depth=1
                                        ; =>  This Inner Loop Header: Depth=2
	s_add_u32 s18, s4, s14
	s_addc_u32 s19, s5, s15
	s_add_u32 s14, s14, 1
	global_load_ubyte v4, v6, s[18:19]
	s_addc_u32 s15, s15, 0
	s_waitcnt vmcnt(0)
	v_and_b32_e32 v5, 0xffff, v4
	v_lshlrev_b64 v[4:5], s12, v[5:6]
	s_add_u32 s12, s12, 8
	s_addc_u32 s13, s13, 0
	s_cmp_lg_u32 s17, s14
	v_or_b32_e32 v15, v4, v15
	v_or_b32_e32 v16, v5, v16
	s_cbranch_scc1 .LBB6_1596
.LBB6_1597:                             ;   in Loop: Header=BB6_1579 Depth=1
	s_mov_b32 s16, 0
	s_cbranch_execz .LBB6_1599
	s_branch .LBB6_1600
.LBB6_1598:                             ;   in Loop: Header=BB6_1579 Depth=1
                                        ; implicit-def: $sgpr16
.LBB6_1599:                             ;   in Loop: Header=BB6_1579 Depth=1
	global_load_dwordx2 v[15:16], v6, s[4:5]
	s_add_i32 s16, s17, -8
	s_add_u32 s4, s4, 8
	s_addc_u32 s5, s5, 0
.LBB6_1600:                             ;   in Loop: Header=BB6_1579 Depth=1
	s_cmp_gt_u32 s16, 7
	s_cbranch_scc1 .LBB6_1605
; %bb.1601:                             ;   in Loop: Header=BB6_1579 Depth=1
	v_mov_b32_e32 v17, 0
	v_mov_b32_e32 v18, 0
	s_cmp_eq_u32 s16, 0
	s_cbranch_scc1 .LBB6_1604
; %bb.1602:                             ;   in Loop: Header=BB6_1579 Depth=1
	s_mov_b64 s[12:13], 0
	s_mov_b64 s[14:15], 0
.LBB6_1603:                             ;   Parent Loop BB6_1579 Depth=1
                                        ; =>  This Inner Loop Header: Depth=2
	s_add_u32 s18, s4, s14
	s_addc_u32 s19, s5, s15
	s_add_u32 s14, s14, 1
	global_load_ubyte v4, v6, s[18:19]
	s_addc_u32 s15, s15, 0
	s_waitcnt vmcnt(0)
	v_and_b32_e32 v5, 0xffff, v4
	v_lshlrev_b64 v[4:5], s12, v[5:6]
	s_add_u32 s12, s12, 8
	s_addc_u32 s13, s13, 0
	s_cmp_lg_u32 s16, s14
	v_or_b32_e32 v17, v4, v17
	v_or_b32_e32 v18, v5, v18
	s_cbranch_scc1 .LBB6_1603
.LBB6_1604:                             ;   in Loop: Header=BB6_1579 Depth=1
	s_mov_b32 s17, 0
	s_cbranch_execz .LBB6_1606
	s_branch .LBB6_1607
.LBB6_1605:                             ;   in Loop: Header=BB6_1579 Depth=1
                                        ; implicit-def: $vgpr17_vgpr18
                                        ; implicit-def: $sgpr17
.LBB6_1606:                             ;   in Loop: Header=BB6_1579 Depth=1
	global_load_dwordx2 v[17:18], v6, s[4:5]
	s_add_i32 s17, s16, -8
	s_add_u32 s4, s4, 8
	s_addc_u32 s5, s5, 0
.LBB6_1607:                             ;   in Loop: Header=BB6_1579 Depth=1
	s_cmp_gt_u32 s17, 7
	s_cbranch_scc1 .LBB6_1612
; %bb.1608:                             ;   in Loop: Header=BB6_1579 Depth=1
	v_mov_b32_e32 v19, 0
	v_mov_b32_e32 v20, 0
	s_cmp_eq_u32 s17, 0
	s_cbranch_scc1 .LBB6_1611
; %bb.1609:                             ;   in Loop: Header=BB6_1579 Depth=1
	s_mov_b64 s[12:13], 0
	s_mov_b64 s[14:15], 0
.LBB6_1610:                             ;   Parent Loop BB6_1579 Depth=1
                                        ; =>  This Inner Loop Header: Depth=2
	s_add_u32 s18, s4, s14
	s_addc_u32 s19, s5, s15
	s_add_u32 s14, s14, 1
	global_load_ubyte v4, v6, s[18:19]
	s_addc_u32 s15, s15, 0
	s_waitcnt vmcnt(0)
	v_and_b32_e32 v5, 0xffff, v4
	v_lshlrev_b64 v[4:5], s12, v[5:6]
	s_add_u32 s12, s12, 8
	s_addc_u32 s13, s13, 0
	s_cmp_lg_u32 s17, s14
	v_or_b32_e32 v19, v4, v19
	v_or_b32_e32 v20, v5, v20
	s_cbranch_scc1 .LBB6_1610
.LBB6_1611:                             ;   in Loop: Header=BB6_1579 Depth=1
	s_mov_b32 s16, 0
	s_cbranch_execz .LBB6_1613
	s_branch .LBB6_1614
.LBB6_1612:                             ;   in Loop: Header=BB6_1579 Depth=1
                                        ; implicit-def: $sgpr16
.LBB6_1613:                             ;   in Loop: Header=BB6_1579 Depth=1
	global_load_dwordx2 v[19:20], v6, s[4:5]
	s_add_i32 s16, s17, -8
	s_add_u32 s4, s4, 8
	s_addc_u32 s5, s5, 0
.LBB6_1614:                             ;   in Loop: Header=BB6_1579 Depth=1
	s_cmp_gt_u32 s16, 7
	s_cbranch_scc1 .LBB6_1619
; %bb.1615:                             ;   in Loop: Header=BB6_1579 Depth=1
	v_mov_b32_e32 v21, 0
	v_mov_b32_e32 v22, 0
	s_cmp_eq_u32 s16, 0
	s_cbranch_scc1 .LBB6_1618
; %bb.1616:                             ;   in Loop: Header=BB6_1579 Depth=1
	s_mov_b64 s[12:13], 0
	s_mov_b64 s[14:15], 0
.LBB6_1617:                             ;   Parent Loop BB6_1579 Depth=1
                                        ; =>  This Inner Loop Header: Depth=2
	s_add_u32 s18, s4, s14
	s_addc_u32 s19, s5, s15
	s_add_u32 s14, s14, 1
	global_load_ubyte v4, v6, s[18:19]
	s_addc_u32 s15, s15, 0
	s_waitcnt vmcnt(0)
	v_and_b32_e32 v5, 0xffff, v4
	v_lshlrev_b64 v[4:5], s12, v[5:6]
	s_add_u32 s12, s12, 8
	s_addc_u32 s13, s13, 0
	s_cmp_lg_u32 s16, s14
	v_or_b32_e32 v21, v4, v21
	v_or_b32_e32 v22, v5, v22
	s_cbranch_scc1 .LBB6_1617
.LBB6_1618:                             ;   in Loop: Header=BB6_1579 Depth=1
	s_mov_b32 s17, 0
	s_cbranch_execz .LBB6_1620
	s_branch .LBB6_1621
.LBB6_1619:                             ;   in Loop: Header=BB6_1579 Depth=1
                                        ; implicit-def: $vgpr21_vgpr22
                                        ; implicit-def: $sgpr17
.LBB6_1620:                             ;   in Loop: Header=BB6_1579 Depth=1
	global_load_dwordx2 v[21:22], v6, s[4:5]
	s_add_i32 s17, s16, -8
	s_add_u32 s4, s4, 8
	s_addc_u32 s5, s5, 0
.LBB6_1621:                             ;   in Loop: Header=BB6_1579 Depth=1
	s_cmp_gt_u32 s17, 7
	s_cbranch_scc1 .LBB6_1626
; %bb.1622:                             ;   in Loop: Header=BB6_1579 Depth=1
	v_mov_b32_e32 v23, 0
	v_mov_b32_e32 v24, 0
	s_cmp_eq_u32 s17, 0
	s_cbranch_scc1 .LBB6_1625
; %bb.1623:                             ;   in Loop: Header=BB6_1579 Depth=1
	s_mov_b64 s[12:13], 0
	s_mov_b64 s[14:15], s[4:5]
.LBB6_1624:                             ;   Parent Loop BB6_1579 Depth=1
                                        ; =>  This Inner Loop Header: Depth=2
	global_load_ubyte v4, v6, s[14:15]
	s_add_i32 s17, s17, -1
	s_waitcnt vmcnt(0)
	v_and_b32_e32 v5, 0xffff, v4
	v_lshlrev_b64 v[4:5], s12, v[5:6]
	s_add_u32 s12, s12, 8
	s_addc_u32 s13, s13, 0
	s_add_u32 s14, s14, 1
	s_addc_u32 s15, s15, 0
	s_cmp_lg_u32 s17, 0
	v_or_b32_e32 v23, v4, v23
	v_or_b32_e32 v24, v5, v24
	s_cbranch_scc1 .LBB6_1624
.LBB6_1625:                             ;   in Loop: Header=BB6_1579 Depth=1
	s_cbranch_execz .LBB6_1627
	s_branch .LBB6_1628
.LBB6_1626:                             ;   in Loop: Header=BB6_1579 Depth=1
.LBB6_1627:                             ;   in Loop: Header=BB6_1579 Depth=1
	global_load_dwordx2 v[23:24], v6, s[4:5]
.LBB6_1628:                             ;   in Loop: Header=BB6_1579 Depth=1
	v_readfirstlane_b32 s4, v42
	s_waitcnt vmcnt(0)
	v_mov_b32_e32 v4, 0
	v_mov_b32_e32 v5, 0
	v_cmp_eq_u32_e64 s4, s4, v42
	s_and_saveexec_b32 s5, s4
	s_cbranch_execz .LBB6_1634
; %bb.1629:                             ;   in Loop: Header=BB6_1579 Depth=1
	global_load_dwordx2 v[27:28], v6, s[38:39] offset:24 glc dlc
	s_waitcnt vmcnt(0)
	buffer_gl1_inv
	buffer_gl0_inv
	s_clause 0x1
	global_load_dwordx2 v[4:5], v6, s[38:39] offset:40
	global_load_dwordx2 v[9:10], v6, s[38:39]
	s_mov_b32 s12, exec_lo
	s_waitcnt vmcnt(1)
	v_and_b32_e32 v5, v5, v28
	v_and_b32_e32 v4, v4, v27
	v_mul_lo_u32 v5, v5, 24
	v_mul_hi_u32 v25, v4, 24
	v_mul_lo_u32 v4, v4, 24
	v_add_nc_u32_e32 v5, v25, v5
	s_waitcnt vmcnt(0)
	v_add_co_u32 v4, vcc_lo, v9, v4
	v_add_co_ci_u32_e32 v5, vcc_lo, v10, v5, vcc_lo
	global_load_dwordx2 v[25:26], v[4:5], off glc dlc
	s_waitcnt vmcnt(0)
	global_atomic_cmpswap_x2 v[4:5], v6, v[25:28], s[38:39] offset:24 glc
	s_waitcnt vmcnt(0)
	buffer_gl1_inv
	buffer_gl0_inv
	v_cmpx_ne_u64_e64 v[4:5], v[27:28]
	s_cbranch_execz .LBB6_1633
; %bb.1630:                             ;   in Loop: Header=BB6_1579 Depth=1
	s_mov_b32 s13, 0
	.p2align	6
.LBB6_1631:                             ;   Parent Loop BB6_1579 Depth=1
                                        ; =>  This Inner Loop Header: Depth=2
	s_sleep 1
	s_clause 0x1
	global_load_dwordx2 v[9:10], v6, s[38:39] offset:40
	global_load_dwordx2 v[25:26], v6, s[38:39]
	v_mov_b32_e32 v28, v5
	v_mov_b32_e32 v27, v4
	s_waitcnt vmcnt(1)
	v_and_b32_e32 v4, v9, v27
	v_and_b32_e32 v9, v10, v28
	s_waitcnt vmcnt(0)
	v_mad_u64_u32 v[4:5], null, v4, 24, v[25:26]
	v_mad_u64_u32 v[9:10], null, v9, 24, v[5:6]
	v_mov_b32_e32 v5, v9
	global_load_dwordx2 v[25:26], v[4:5], off glc dlc
	s_waitcnt vmcnt(0)
	global_atomic_cmpswap_x2 v[4:5], v6, v[25:28], s[38:39] offset:24 glc
	s_waitcnt vmcnt(0)
	buffer_gl1_inv
	buffer_gl0_inv
	v_cmp_eq_u64_e32 vcc_lo, v[4:5], v[27:28]
	s_or_b32 s13, vcc_lo, s13
	s_andn2_b32 exec_lo, exec_lo, s13
	s_cbranch_execnz .LBB6_1631
; %bb.1632:                             ;   in Loop: Header=BB6_1579 Depth=1
	s_or_b32 exec_lo, exec_lo, s13
.LBB6_1633:                             ;   in Loop: Header=BB6_1579 Depth=1
	s_or_b32 exec_lo, exec_lo, s12
.LBB6_1634:                             ;   in Loop: Header=BB6_1579 Depth=1
	s_or_b32 exec_lo, exec_lo, s5
	s_clause 0x1
	global_load_dwordx2 v[9:10], v6, s[38:39] offset:40
	global_load_dwordx4 v[25:28], v6, s[38:39]
	v_readfirstlane_b32 s12, v4
	v_readfirstlane_b32 s13, v5
	s_mov_b32 s5, exec_lo
	s_waitcnt vmcnt(1)
	v_readfirstlane_b32 s14, v9
	v_readfirstlane_b32 s15, v10
	s_and_b64 s[14:15], s[12:13], s[14:15]
	s_mul_i32 s16, s15, 24
	s_mul_hi_u32 s17, s14, 24
	s_mul_i32 s18, s14, 24
	s_add_i32 s17, s17, s16
	s_waitcnt vmcnt(0)
	v_add_co_u32 v29, vcc_lo, v25, s18
	v_add_co_ci_u32_e32 v30, vcc_lo, s17, v26, vcc_lo
	s_and_saveexec_b32 s16, s4
	s_cbranch_execz .LBB6_1636
; %bb.1635:                             ;   in Loop: Header=BB6_1579 Depth=1
	v_mov_b32_e32 v5, s5
	global_store_dwordx4 v[29:30], v[5:8], off offset:8
.LBB6_1636:                             ;   in Loop: Header=BB6_1579 Depth=1
	s_or_b32 exec_lo, exec_lo, s16
	s_lshl_b64 s[14:15], s[14:15], 12
	v_cmp_gt_u64_e64 vcc_lo, s[8:9], 56
	v_or_b32_e32 v5, v2, v31
	v_add_co_u32 v27, s5, v27, s14
	v_add_co_ci_u32_e64 v28, s5, s15, v28, s5
	s_lshl_b32 s5, s10, 2
	v_or_b32_e32 v4, 0, v3
	v_cndmask_b32_e32 v2, v5, v2, vcc_lo
	s_add_i32 s5, s5, 28
	v_readfirstlane_b32 s14, v27
	s_and_b32 s5, s5, 0x1e0
	v_cndmask_b32_e32 v10, v4, v3, vcc_lo
	v_readfirstlane_b32 s15, v28
	v_and_or_b32 v9, 0xffffff1f, v2, s5
	global_store_dwordx4 v41, v[9:12], s[14:15]
	global_store_dwordx4 v41, v[13:16], s[14:15] offset:16
	global_store_dwordx4 v41, v[17:20], s[14:15] offset:32
	global_store_dwordx4 v41, v[21:24], s[14:15] offset:48
	s_and_saveexec_b32 s5, s4
	s_cbranch_execz .LBB6_1644
; %bb.1637:                             ;   in Loop: Header=BB6_1579 Depth=1
	s_clause 0x1
	global_load_dwordx2 v[13:14], v6, s[38:39] offset:32 glc dlc
	global_load_dwordx2 v[2:3], v6, s[38:39] offset:40
	v_mov_b32_e32 v11, s12
	v_mov_b32_e32 v12, s13
	s_waitcnt vmcnt(0)
	v_readfirstlane_b32 s14, v2
	v_readfirstlane_b32 s15, v3
	s_and_b64 s[14:15], s[14:15], s[12:13]
	s_mul_i32 s15, s15, 24
	s_mul_hi_u32 s16, s14, 24
	s_mul_i32 s14, s14, 24
	s_add_i32 s16, s16, s15
	v_add_co_u32 v9, vcc_lo, v25, s14
	v_add_co_ci_u32_e32 v10, vcc_lo, s16, v26, vcc_lo
	s_mov_b32 s14, exec_lo
	global_store_dwordx2 v[9:10], v[13:14], off
	s_waitcnt_vscnt null, 0x0
	global_atomic_cmpswap_x2 v[4:5], v6, v[11:14], s[38:39] offset:32 glc
	s_waitcnt vmcnt(0)
	v_cmpx_ne_u64_e64 v[4:5], v[13:14]
	s_cbranch_execz .LBB6_1640
; %bb.1638:                             ;   in Loop: Header=BB6_1579 Depth=1
	s_mov_b32 s15, 0
.LBB6_1639:                             ;   Parent Loop BB6_1579 Depth=1
                                        ; =>  This Inner Loop Header: Depth=2
	v_mov_b32_e32 v2, s12
	v_mov_b32_e32 v3, s13
	s_sleep 1
	global_store_dwordx2 v[9:10], v[4:5], off
	s_waitcnt_vscnt null, 0x0
	global_atomic_cmpswap_x2 v[2:3], v6, v[2:5], s[38:39] offset:32 glc
	s_waitcnt vmcnt(0)
	v_cmp_eq_u64_e32 vcc_lo, v[2:3], v[4:5]
	v_mov_b32_e32 v5, v3
	v_mov_b32_e32 v4, v2
	s_or_b32 s15, vcc_lo, s15
	s_andn2_b32 exec_lo, exec_lo, s15
	s_cbranch_execnz .LBB6_1639
.LBB6_1640:                             ;   in Loop: Header=BB6_1579 Depth=1
	s_or_b32 exec_lo, exec_lo, s14
	global_load_dwordx2 v[2:3], v6, s[38:39] offset:16
	s_mov_b32 s15, exec_lo
	s_mov_b32 s14, exec_lo
	v_mbcnt_lo_u32_b32 v4, s15, 0
	v_cmpx_eq_u32_e32 0, v4
	s_cbranch_execz .LBB6_1642
; %bb.1641:                             ;   in Loop: Header=BB6_1579 Depth=1
	s_bcnt1_i32_b32 s15, s15
	v_mov_b32_e32 v5, s15
	s_waitcnt vmcnt(0)
	global_atomic_add_x2 v[2:3], v[5:6], off offset:8
.LBB6_1642:                             ;   in Loop: Header=BB6_1579 Depth=1
	s_or_b32 exec_lo, exec_lo, s14
	s_waitcnt vmcnt(0)
	global_load_dwordx2 v[9:10], v[2:3], off offset:16
	s_waitcnt vmcnt(0)
	v_cmp_eq_u64_e32 vcc_lo, 0, v[9:10]
	s_cbranch_vccnz .LBB6_1644
; %bb.1643:                             ;   in Loop: Header=BB6_1579 Depth=1
	global_load_dword v5, v[2:3], off offset:24
	s_waitcnt vmcnt(0)
	v_and_b32_e32 v2, 0x7fffff, v5
	s_waitcnt_vscnt null, 0x0
	global_store_dwordx2 v[9:10], v[5:6], off
	v_readfirstlane_b32 m0, v2
	s_sendmsg sendmsg(MSG_INTERRUPT)
.LBB6_1644:                             ;   in Loop: Header=BB6_1579 Depth=1
	s_or_b32 exec_lo, exec_lo, s5
	v_add_co_u32 v2, vcc_lo, v27, v41
	v_add_co_ci_u32_e32 v3, vcc_lo, 0, v28, vcc_lo
	s_branch .LBB6_1648
	.p2align	6
.LBB6_1645:                             ;   in Loop: Header=BB6_1648 Depth=2
	s_or_b32 exec_lo, exec_lo, s5
	v_readfirstlane_b32 s5, v4
	s_cmp_eq_u32 s5, 0
	s_cbranch_scc1 .LBB6_1647
; %bb.1646:                             ;   in Loop: Header=BB6_1648 Depth=2
	s_sleep 1
	s_cbranch_execnz .LBB6_1648
	s_branch .LBB6_1650
	.p2align	6
.LBB6_1647:                             ;   in Loop: Header=BB6_1579 Depth=1
	s_branch .LBB6_1650
.LBB6_1648:                             ;   Parent Loop BB6_1579 Depth=1
                                        ; =>  This Inner Loop Header: Depth=2
	v_mov_b32_e32 v4, 1
	s_and_saveexec_b32 s5, s4
	s_cbranch_execz .LBB6_1645
; %bb.1649:                             ;   in Loop: Header=BB6_1648 Depth=2
	global_load_dword v4, v[29:30], off offset:20 glc dlc
	s_waitcnt vmcnt(0)
	buffer_gl1_inv
	buffer_gl0_inv
	v_and_b32_e32 v4, 1, v4
	s_branch .LBB6_1645
.LBB6_1650:                             ;   in Loop: Header=BB6_1579 Depth=1
	global_load_dwordx4 v[2:5], v[2:3], off
	s_and_saveexec_b32 s5, s4
	s_cbranch_execz .LBB6_1578
; %bb.1651:                             ;   in Loop: Header=BB6_1579 Depth=1
	s_clause 0x2
	global_load_dwordx2 v[4:5], v6, s[38:39] offset:40
	global_load_dwordx2 v[13:14], v6, s[38:39] offset:24 glc dlc
	global_load_dwordx2 v[11:12], v6, s[38:39]
	s_waitcnt vmcnt(2)
	v_add_co_u32 v15, vcc_lo, v4, 1
	v_add_co_ci_u32_e32 v16, vcc_lo, 0, v5, vcc_lo
	v_add_co_u32 v9, vcc_lo, v15, s12
	v_add_co_ci_u32_e32 v10, vcc_lo, s13, v16, vcc_lo
	v_cmp_eq_u64_e32 vcc_lo, 0, v[9:10]
	v_cndmask_b32_e32 v10, v10, v16, vcc_lo
	v_cndmask_b32_e32 v9, v9, v15, vcc_lo
	v_and_b32_e32 v5, v10, v5
	v_and_b32_e32 v4, v9, v4
	v_mul_lo_u32 v5, v5, 24
	v_mul_hi_u32 v15, v4, 24
	v_mul_lo_u32 v4, v4, 24
	v_add_nc_u32_e32 v5, v15, v5
	s_waitcnt vmcnt(0)
	v_add_co_u32 v4, vcc_lo, v11, v4
	v_mov_b32_e32 v11, v13
	v_add_co_ci_u32_e32 v5, vcc_lo, v12, v5, vcc_lo
	v_mov_b32_e32 v12, v14
	global_store_dwordx2 v[4:5], v[13:14], off
	s_waitcnt_vscnt null, 0x0
	global_atomic_cmpswap_x2 v[11:12], v6, v[9:12], s[38:39] offset:24 glc
	s_waitcnt vmcnt(0)
	v_cmp_ne_u64_e32 vcc_lo, v[11:12], v[13:14]
	s_and_b32 exec_lo, exec_lo, vcc_lo
	s_cbranch_execz .LBB6_1578
; %bb.1652:                             ;   in Loop: Header=BB6_1579 Depth=1
	s_mov_b32 s4, 0
.LBB6_1653:                             ;   Parent Loop BB6_1579 Depth=1
                                        ; =>  This Inner Loop Header: Depth=2
	s_sleep 1
	global_store_dwordx2 v[4:5], v[11:12], off
	s_waitcnt_vscnt null, 0x0
	global_atomic_cmpswap_x2 v[13:14], v6, v[9:12], s[38:39] offset:24 glc
	s_waitcnt vmcnt(0)
	v_cmp_eq_u64_e32 vcc_lo, v[13:14], v[11:12]
	v_mov_b32_e32 v11, v13
	v_mov_b32_e32 v12, v14
	s_or_b32 s4, vcc_lo, s4
	s_andn2_b32 exec_lo, exec_lo, s4
	s_cbranch_execnz .LBB6_1653
	s_branch .LBB6_1578
.LBB6_1654:
	s_mov_b32 s4, 0
	s_branch .LBB6_1656
.LBB6_1655:
	s_mov_b32 s4, -1
                                        ; implicit-def: $vgpr2_vgpr3
.LBB6_1656:
	s_and_b32 vcc_lo, exec_lo, s4
	s_cbranch_vccz .LBB6_1684
; %bb.1657:
	v_readfirstlane_b32 s4, v42
	v_mov_b32_e32 v8, 0
	v_mov_b32_e32 v9, 0
	v_cmp_eq_u32_e64 s4, s4, v42
	s_and_saveexec_b32 s5, s4
	s_cbranch_execz .LBB6_1663
; %bb.1658:
	s_waitcnt vmcnt(0)
	v_mov_b32_e32 v2, 0
	s_mov_b32 s6, exec_lo
	global_load_dwordx2 v[5:6], v2, s[38:39] offset:24 glc dlc
	s_waitcnt vmcnt(0)
	buffer_gl1_inv
	buffer_gl0_inv
	s_clause 0x1
	global_load_dwordx2 v[3:4], v2, s[38:39] offset:40
	global_load_dwordx2 v[7:8], v2, s[38:39]
	s_waitcnt vmcnt(1)
	v_and_b32_e32 v4, v4, v6
	v_and_b32_e32 v3, v3, v5
	v_mul_lo_u32 v4, v4, 24
	v_mul_hi_u32 v9, v3, 24
	v_mul_lo_u32 v3, v3, 24
	v_add_nc_u32_e32 v4, v9, v4
	s_waitcnt vmcnt(0)
	v_add_co_u32 v3, vcc_lo, v7, v3
	v_add_co_ci_u32_e32 v4, vcc_lo, v8, v4, vcc_lo
	global_load_dwordx2 v[3:4], v[3:4], off glc dlc
	s_waitcnt vmcnt(0)
	global_atomic_cmpswap_x2 v[8:9], v2, v[3:6], s[38:39] offset:24 glc
	s_waitcnt vmcnt(0)
	buffer_gl1_inv
	buffer_gl0_inv
	v_cmpx_ne_u64_e64 v[8:9], v[5:6]
	s_cbranch_execz .LBB6_1662
; %bb.1659:
	s_mov_b32 s7, 0
.LBB6_1660:                             ; =>This Inner Loop Header: Depth=1
	s_sleep 1
	s_clause 0x1
	global_load_dwordx2 v[3:4], v2, s[38:39] offset:40
	global_load_dwordx2 v[10:11], v2, s[38:39]
	v_mov_b32_e32 v5, v8
	v_mov_b32_e32 v6, v9
	s_waitcnt vmcnt(1)
	v_and_b32_e32 v3, v3, v5
	v_and_b32_e32 v4, v4, v6
	s_waitcnt vmcnt(0)
	v_mad_u64_u32 v[7:8], null, v3, 24, v[10:11]
	v_mov_b32_e32 v3, v8
	v_mad_u64_u32 v[3:4], null, v4, 24, v[3:4]
	v_mov_b32_e32 v8, v3
	global_load_dwordx2 v[3:4], v[7:8], off glc dlc
	s_waitcnt vmcnt(0)
	global_atomic_cmpswap_x2 v[8:9], v2, v[3:6], s[38:39] offset:24 glc
	s_waitcnt vmcnt(0)
	buffer_gl1_inv
	buffer_gl0_inv
	v_cmp_eq_u64_e32 vcc_lo, v[8:9], v[5:6]
	s_or_b32 s7, vcc_lo, s7
	s_andn2_b32 exec_lo, exec_lo, s7
	s_cbranch_execnz .LBB6_1660
; %bb.1661:
	s_or_b32 exec_lo, exec_lo, s7
.LBB6_1662:
	s_or_b32 exec_lo, exec_lo, s6
.LBB6_1663:
	s_or_b32 exec_lo, exec_lo, s5
	s_waitcnt vmcnt(0)
	v_mov_b32_e32 v2, 0
	v_readfirstlane_b32 s6, v8
	v_readfirstlane_b32 s7, v9
	s_mov_b32 s5, exec_lo
	s_clause 0x1
	global_load_dwordx2 v[10:11], v2, s[38:39] offset:40
	global_load_dwordx4 v[4:7], v2, s[38:39]
	s_waitcnt vmcnt(1)
	v_readfirstlane_b32 s8, v10
	v_readfirstlane_b32 s9, v11
	s_and_b64 s[8:9], s[6:7], s[8:9]
	s_mul_i32 s10, s9, 24
	s_mul_hi_u32 s11, s8, 24
	s_mul_i32 s12, s8, 24
	s_add_i32 s11, s11, s10
	s_waitcnt vmcnt(0)
	v_add_co_u32 v8, vcc_lo, v4, s12
	v_add_co_ci_u32_e32 v9, vcc_lo, s11, v5, vcc_lo
	s_and_saveexec_b32 s10, s4
	s_cbranch_execz .LBB6_1665
; %bb.1664:
	v_mov_b32_e32 v10, s5
	v_mov_b32_e32 v11, v2
	;; [unrolled: 1-line block ×4, first 2 shown]
	global_store_dwordx4 v[8:9], v[10:13], off offset:8
.LBB6_1665:
	s_or_b32 exec_lo, exec_lo, s10
	s_lshl_b64 s[8:9], s[8:9], 12
	v_and_or_b32 v0, 0xffffff1f, v0, 32
	v_add_co_u32 v6, vcc_lo, v6, s8
	v_add_co_ci_u32_e32 v7, vcc_lo, s9, v7, vcc_lo
	s_mov_b32 s8, 0
	v_readfirstlane_b32 s12, v6
	s_mov_b32 s11, s8
	v_add_co_u32 v6, vcc_lo, v6, v41
	s_mov_b32 s9, s8
	s_mov_b32 s10, s8
	v_mov_b32_e32 v3, v2
	v_readfirstlane_b32 s13, v7
	v_mov_b32_e32 v13, s11
	v_add_co_ci_u32_e32 v7, vcc_lo, 0, v7, vcc_lo
	v_mov_b32_e32 v12, s10
	v_mov_b32_e32 v11, s9
	;; [unrolled: 1-line block ×3, first 2 shown]
	global_store_dwordx4 v41, v[0:3], s[12:13]
	global_store_dwordx4 v41, v[10:13], s[12:13] offset:16
	global_store_dwordx4 v41, v[10:13], s[12:13] offset:32
	global_store_dwordx4 v41, v[10:13], s[12:13] offset:48
	s_and_saveexec_b32 s5, s4
	s_cbranch_execz .LBB6_1673
; %bb.1666:
	v_mov_b32_e32 v10, 0
	v_mov_b32_e32 v11, s6
	;; [unrolled: 1-line block ×3, first 2 shown]
	s_clause 0x1
	global_load_dwordx2 v[13:14], v10, s[38:39] offset:32 glc dlc
	global_load_dwordx2 v[0:1], v10, s[38:39] offset:40
	s_waitcnt vmcnt(0)
	v_readfirstlane_b32 s8, v0
	v_readfirstlane_b32 s9, v1
	s_and_b64 s[8:9], s[8:9], s[6:7]
	s_mul_i32 s9, s9, 24
	s_mul_hi_u32 s10, s8, 24
	s_mul_i32 s8, s8, 24
	s_add_i32 s10, s10, s9
	v_add_co_u32 v4, vcc_lo, v4, s8
	v_add_co_ci_u32_e32 v5, vcc_lo, s10, v5, vcc_lo
	s_mov_b32 s8, exec_lo
	global_store_dwordx2 v[4:5], v[13:14], off
	s_waitcnt_vscnt null, 0x0
	global_atomic_cmpswap_x2 v[2:3], v10, v[11:14], s[38:39] offset:32 glc
	s_waitcnt vmcnt(0)
	v_cmpx_ne_u64_e64 v[2:3], v[13:14]
	s_cbranch_execz .LBB6_1669
; %bb.1667:
	s_mov_b32 s9, 0
.LBB6_1668:                             ; =>This Inner Loop Header: Depth=1
	v_mov_b32_e32 v0, s6
	v_mov_b32_e32 v1, s7
	s_sleep 1
	global_store_dwordx2 v[4:5], v[2:3], off
	s_waitcnt_vscnt null, 0x0
	global_atomic_cmpswap_x2 v[0:1], v10, v[0:3], s[38:39] offset:32 glc
	s_waitcnt vmcnt(0)
	v_cmp_eq_u64_e32 vcc_lo, v[0:1], v[2:3]
	v_mov_b32_e32 v3, v1
	v_mov_b32_e32 v2, v0
	s_or_b32 s9, vcc_lo, s9
	s_andn2_b32 exec_lo, exec_lo, s9
	s_cbranch_execnz .LBB6_1668
.LBB6_1669:
	s_or_b32 exec_lo, exec_lo, s8
	v_mov_b32_e32 v3, 0
	s_mov_b32 s9, exec_lo
	s_mov_b32 s8, exec_lo
	v_mbcnt_lo_u32_b32 v2, s9, 0
	global_load_dwordx2 v[0:1], v3, s[38:39] offset:16
	v_cmpx_eq_u32_e32 0, v2
	s_cbranch_execz .LBB6_1671
; %bb.1670:
	s_bcnt1_i32_b32 s9, s9
	v_mov_b32_e32 v2, s9
	s_waitcnt vmcnt(0)
	global_atomic_add_x2 v[0:1], v[2:3], off offset:8
.LBB6_1671:
	s_or_b32 exec_lo, exec_lo, s8
	s_waitcnt vmcnt(0)
	global_load_dwordx2 v[2:3], v[0:1], off offset:16
	s_waitcnt vmcnt(0)
	v_cmp_eq_u64_e32 vcc_lo, 0, v[2:3]
	s_cbranch_vccnz .LBB6_1673
; %bb.1672:
	global_load_dword v0, v[0:1], off offset:24
	v_mov_b32_e32 v1, 0
	s_waitcnt vmcnt(0)
	v_and_b32_e32 v4, 0x7fffff, v0
	s_waitcnt_vscnt null, 0x0
	global_store_dwordx2 v[2:3], v[0:1], off
	v_readfirstlane_b32 m0, v4
	s_sendmsg sendmsg(MSG_INTERRUPT)
.LBB6_1673:
	s_or_b32 exec_lo, exec_lo, s5
	s_branch .LBB6_1677
	.p2align	6
.LBB6_1674:                             ;   in Loop: Header=BB6_1677 Depth=1
	s_or_b32 exec_lo, exec_lo, s5
	v_readfirstlane_b32 s5, v0
	s_cmp_eq_u32 s5, 0
	s_cbranch_scc1 .LBB6_1676
; %bb.1675:                             ;   in Loop: Header=BB6_1677 Depth=1
	s_sleep 1
	s_cbranch_execnz .LBB6_1677
	s_branch .LBB6_1679
.LBB6_1676:
	s_branch .LBB6_1679
.LBB6_1677:                             ; =>This Inner Loop Header: Depth=1
	v_mov_b32_e32 v0, 1
	s_and_saveexec_b32 s5, s4
	s_cbranch_execz .LBB6_1674
; %bb.1678:                             ;   in Loop: Header=BB6_1677 Depth=1
	global_load_dword v0, v[8:9], off offset:20 glc dlc
	s_waitcnt vmcnt(0)
	buffer_gl1_inv
	buffer_gl0_inv
	v_and_b32_e32 v0, 1, v0
	s_branch .LBB6_1674
.LBB6_1679:
	global_load_dwordx2 v[2:3], v[6:7], off
	s_and_saveexec_b32 s5, s4
	s_cbranch_execz .LBB6_1683
; %bb.1680:
	v_mov_b32_e32 v8, 0
	s_clause 0x2
	global_load_dwordx2 v[0:1], v8, s[38:39] offset:40
	global_load_dwordx2 v[9:10], v8, s[38:39] offset:24 glc dlc
	global_load_dwordx2 v[6:7], v8, s[38:39]
	s_waitcnt vmcnt(2)
	v_add_co_u32 v11, vcc_lo, v0, 1
	v_add_co_ci_u32_e32 v12, vcc_lo, 0, v1, vcc_lo
	v_add_co_u32 v4, vcc_lo, v11, s6
	v_add_co_ci_u32_e32 v5, vcc_lo, s7, v12, vcc_lo
	v_cmp_eq_u64_e32 vcc_lo, 0, v[4:5]
	v_cndmask_b32_e32 v5, v5, v12, vcc_lo
	v_cndmask_b32_e32 v4, v4, v11, vcc_lo
	v_and_b32_e32 v1, v5, v1
	v_and_b32_e32 v0, v4, v0
	v_mul_lo_u32 v1, v1, 24
	v_mul_hi_u32 v11, v0, 24
	v_mul_lo_u32 v0, v0, 24
	v_add_nc_u32_e32 v1, v11, v1
	s_waitcnt vmcnt(0)
	v_add_co_u32 v0, vcc_lo, v6, v0
	v_mov_b32_e32 v6, v9
	v_add_co_ci_u32_e32 v1, vcc_lo, v7, v1, vcc_lo
	v_mov_b32_e32 v7, v10
	global_store_dwordx2 v[0:1], v[9:10], off
	s_waitcnt_vscnt null, 0x0
	global_atomic_cmpswap_x2 v[6:7], v8, v[4:7], s[38:39] offset:24 glc
	s_waitcnt vmcnt(0)
	v_cmp_ne_u64_e32 vcc_lo, v[6:7], v[9:10]
	s_and_b32 exec_lo, exec_lo, vcc_lo
	s_cbranch_execz .LBB6_1683
; %bb.1681:
	s_mov_b32 s4, 0
.LBB6_1682:                             ; =>This Inner Loop Header: Depth=1
	s_sleep 1
	global_store_dwordx2 v[0:1], v[6:7], off
	s_waitcnt_vscnt null, 0x0
	global_atomic_cmpswap_x2 v[9:10], v8, v[4:7], s[38:39] offset:24 glc
	s_waitcnt vmcnt(0)
	v_cmp_eq_u64_e32 vcc_lo, v[9:10], v[6:7]
	v_mov_b32_e32 v6, v9
	v_mov_b32_e32 v7, v10
	s_or_b32 s4, vcc_lo, s4
	s_andn2_b32 exec_lo, exec_lo, s4
	s_cbranch_execnz .LBB6_1682
.LBB6_1683:
	s_or_b32 exec_lo, exec_lo, s5
.LBB6_1684:
	v_readfirstlane_b32 s4, v42
	s_waitcnt vmcnt(0)
	v_mov_b32_e32 v0, 0
	v_mov_b32_e32 v1, 0
	v_cmp_eq_u32_e64 s4, s4, v42
	s_and_saveexec_b32 s5, s4
	s_cbranch_execz .LBB6_1690
; %bb.1685:
	v_mov_b32_e32 v4, 0
	s_mov_b32 s6, exec_lo
	global_load_dwordx2 v[7:8], v4, s[38:39] offset:24 glc dlc
	s_waitcnt vmcnt(0)
	buffer_gl1_inv
	buffer_gl0_inv
	s_clause 0x1
	global_load_dwordx2 v[0:1], v4, s[38:39] offset:40
	global_load_dwordx2 v[5:6], v4, s[38:39]
	s_waitcnt vmcnt(1)
	v_and_b32_e32 v1, v1, v8
	v_and_b32_e32 v0, v0, v7
	v_mul_lo_u32 v1, v1, 24
	v_mul_hi_u32 v9, v0, 24
	v_mul_lo_u32 v0, v0, 24
	v_add_nc_u32_e32 v1, v9, v1
	s_waitcnt vmcnt(0)
	v_add_co_u32 v0, vcc_lo, v5, v0
	v_add_co_ci_u32_e32 v1, vcc_lo, v6, v1, vcc_lo
	global_load_dwordx2 v[5:6], v[0:1], off glc dlc
	s_waitcnt vmcnt(0)
	global_atomic_cmpswap_x2 v[0:1], v4, v[5:8], s[38:39] offset:24 glc
	s_waitcnt vmcnt(0)
	buffer_gl1_inv
	buffer_gl0_inv
	v_cmpx_ne_u64_e64 v[0:1], v[7:8]
	s_cbranch_execz .LBB6_1689
; %bb.1686:
	s_mov_b32 s7, 0
.LBB6_1687:                             ; =>This Inner Loop Header: Depth=1
	s_sleep 1
	s_clause 0x1
	global_load_dwordx2 v[5:6], v4, s[38:39] offset:40
	global_load_dwordx2 v[9:10], v4, s[38:39]
	v_mov_b32_e32 v8, v1
	v_mov_b32_e32 v7, v0
	s_waitcnt vmcnt(1)
	v_and_b32_e32 v0, v5, v7
	v_and_b32_e32 v5, v6, v8
	s_waitcnt vmcnt(0)
	v_mad_u64_u32 v[0:1], null, v0, 24, v[9:10]
	v_mad_u64_u32 v[5:6], null, v5, 24, v[1:2]
	v_mov_b32_e32 v1, v5
	global_load_dwordx2 v[5:6], v[0:1], off glc dlc
	s_waitcnt vmcnt(0)
	global_atomic_cmpswap_x2 v[0:1], v4, v[5:8], s[38:39] offset:24 glc
	s_waitcnt vmcnt(0)
	buffer_gl1_inv
	buffer_gl0_inv
	v_cmp_eq_u64_e32 vcc_lo, v[0:1], v[7:8]
	s_or_b32 s7, vcc_lo, s7
	s_andn2_b32 exec_lo, exec_lo, s7
	s_cbranch_execnz .LBB6_1687
; %bb.1688:
	s_or_b32 exec_lo, exec_lo, s7
.LBB6_1689:
	s_or_b32 exec_lo, exec_lo, s6
.LBB6_1690:
	s_or_b32 exec_lo, exec_lo, s5
	v_mov_b32_e32 v5, 0
	v_readfirstlane_b32 s6, v0
	v_readfirstlane_b32 s7, v1
	s_mov_b32 s5, exec_lo
	s_clause 0x1
	global_load_dwordx2 v[10:11], v5, s[38:39] offset:40
	global_load_dwordx4 v[6:9], v5, s[38:39]
	s_waitcnt vmcnt(1)
	v_readfirstlane_b32 s8, v10
	v_readfirstlane_b32 s9, v11
	s_and_b64 s[8:9], s[6:7], s[8:9]
	s_mul_i32 s10, s9, 24
	s_mul_hi_u32 s11, s8, 24
	s_mul_i32 s12, s8, 24
	s_add_i32 s11, s11, s10
	s_waitcnt vmcnt(0)
	v_add_co_u32 v10, vcc_lo, v6, s12
	v_add_co_ci_u32_e32 v11, vcc_lo, s11, v7, vcc_lo
	s_and_saveexec_b32 s10, s4
	s_cbranch_execz .LBB6_1692
; %bb.1691:
	v_mov_b32_e32 v4, s5
	v_mov_b32_e32 v13, v5
	;; [unrolled: 1-line block ×5, first 2 shown]
	global_store_dwordx4 v[10:11], v[12:15], off offset:8
.LBB6_1692:
	s_or_b32 exec_lo, exec_lo, s10
	s_lshl_b64 s[8:9], s[8:9], 12
	v_and_or_b32 v2, 0xffffff1d, v2, 34
	v_add_co_u32 v0, vcc_lo, v8, s8
	v_add_co_ci_u32_e32 v1, vcc_lo, s9, v9, vcc_lo
	s_mov_b32 s8, 0
	v_mov_b32_e32 v4, 10
	s_mov_b32 s11, s8
	s_mov_b32 s9, s8
	;; [unrolled: 1-line block ×3, first 2 shown]
	v_readfirstlane_b32 s12, v0
	v_readfirstlane_b32 s13, v1
	v_mov_b32_e32 v15, s11
	v_mov_b32_e32 v14, s10
	;; [unrolled: 1-line block ×4, first 2 shown]
	global_store_dwordx4 v41, v[2:5], s[12:13]
	global_store_dwordx4 v41, v[12:15], s[12:13] offset:16
	global_store_dwordx4 v41, v[12:15], s[12:13] offset:32
	;; [unrolled: 1-line block ×3, first 2 shown]
	s_and_saveexec_b32 s5, s4
	s_cbranch_execz .LBB6_1700
; %bb.1693:
	v_mov_b32_e32 v8, 0
	v_mov_b32_e32 v12, s6
	;; [unrolled: 1-line block ×3, first 2 shown]
	s_clause 0x1
	global_load_dwordx2 v[14:15], v8, s[38:39] offset:32 glc dlc
	global_load_dwordx2 v[0:1], v8, s[38:39] offset:40
	s_waitcnt vmcnt(0)
	v_readfirstlane_b32 s8, v0
	v_readfirstlane_b32 s9, v1
	s_and_b64 s[8:9], s[8:9], s[6:7]
	s_mul_i32 s9, s9, 24
	s_mul_hi_u32 s10, s8, 24
	s_mul_i32 s8, s8, 24
	s_add_i32 s10, s10, s9
	v_add_co_u32 v4, vcc_lo, v6, s8
	v_add_co_ci_u32_e32 v5, vcc_lo, s10, v7, vcc_lo
	s_mov_b32 s8, exec_lo
	global_store_dwordx2 v[4:5], v[14:15], off
	s_waitcnt_vscnt null, 0x0
	global_atomic_cmpswap_x2 v[2:3], v8, v[12:15], s[38:39] offset:32 glc
	s_waitcnt vmcnt(0)
	v_cmpx_ne_u64_e64 v[2:3], v[14:15]
	s_cbranch_execz .LBB6_1696
; %bb.1694:
	s_mov_b32 s9, 0
.LBB6_1695:                             ; =>This Inner Loop Header: Depth=1
	v_mov_b32_e32 v0, s6
	v_mov_b32_e32 v1, s7
	s_sleep 1
	global_store_dwordx2 v[4:5], v[2:3], off
	s_waitcnt_vscnt null, 0x0
	global_atomic_cmpswap_x2 v[0:1], v8, v[0:3], s[38:39] offset:32 glc
	s_waitcnt vmcnt(0)
	v_cmp_eq_u64_e32 vcc_lo, v[0:1], v[2:3]
	v_mov_b32_e32 v3, v1
	v_mov_b32_e32 v2, v0
	s_or_b32 s9, vcc_lo, s9
	s_andn2_b32 exec_lo, exec_lo, s9
	s_cbranch_execnz .LBB6_1695
.LBB6_1696:
	s_or_b32 exec_lo, exec_lo, s8
	v_mov_b32_e32 v3, 0
	s_mov_b32 s9, exec_lo
	s_mov_b32 s8, exec_lo
	v_mbcnt_lo_u32_b32 v2, s9, 0
	global_load_dwordx2 v[0:1], v3, s[38:39] offset:16
	v_cmpx_eq_u32_e32 0, v2
	s_cbranch_execz .LBB6_1698
; %bb.1697:
	s_bcnt1_i32_b32 s9, s9
	v_mov_b32_e32 v2, s9
	s_waitcnt vmcnt(0)
	global_atomic_add_x2 v[0:1], v[2:3], off offset:8
.LBB6_1698:
	s_or_b32 exec_lo, exec_lo, s8
	s_waitcnt vmcnt(0)
	global_load_dwordx2 v[2:3], v[0:1], off offset:16
	s_waitcnt vmcnt(0)
	v_cmp_eq_u64_e32 vcc_lo, 0, v[2:3]
	s_cbranch_vccnz .LBB6_1700
; %bb.1699:
	global_load_dword v0, v[0:1], off offset:24
	v_mov_b32_e32 v1, 0
	s_waitcnt vmcnt(0)
	v_and_b32_e32 v4, 0x7fffff, v0
	s_waitcnt_vscnt null, 0x0
	global_store_dwordx2 v[2:3], v[0:1], off
	v_readfirstlane_b32 m0, v4
	s_sendmsg sendmsg(MSG_INTERRUPT)
.LBB6_1700:
	s_or_b32 exec_lo, exec_lo, s5
	s_branch .LBB6_1704
	.p2align	6
.LBB6_1701:                             ;   in Loop: Header=BB6_1704 Depth=1
	s_or_b32 exec_lo, exec_lo, s5
	v_readfirstlane_b32 s5, v0
	s_cmp_eq_u32 s5, 0
	s_cbranch_scc1 .LBB6_1703
; %bb.1702:                             ;   in Loop: Header=BB6_1704 Depth=1
	s_sleep 1
	s_cbranch_execnz .LBB6_1704
	s_branch .LBB6_1706
	.p2align	6
.LBB6_1703:
	s_branch .LBB6_1706
.LBB6_1704:                             ; =>This Inner Loop Header: Depth=1
	v_mov_b32_e32 v0, 1
	s_and_saveexec_b32 s5, s4
	s_cbranch_execz .LBB6_1701
; %bb.1705:                             ;   in Loop: Header=BB6_1704 Depth=1
	global_load_dword v0, v[10:11], off offset:20 glc dlc
	s_waitcnt vmcnt(0)
	buffer_gl1_inv
	buffer_gl0_inv
	v_and_b32_e32 v0, 1, v0
	s_branch .LBB6_1701
.LBB6_1706:
	s_and_saveexec_b32 s5, s4
	s_cbranch_execz .LBB6_1710
; %bb.1707:
	v_mov_b32_e32 v6, 0
	s_clause 0x2
	global_load_dwordx2 v[2:3], v6, s[38:39] offset:40
	global_load_dwordx2 v[7:8], v6, s[38:39] offset:24 glc dlc
	global_load_dwordx2 v[4:5], v6, s[38:39]
	s_waitcnt vmcnt(2)
	v_add_co_u32 v9, vcc_lo, v2, 1
	v_add_co_ci_u32_e32 v10, vcc_lo, 0, v3, vcc_lo
	v_add_co_u32 v0, vcc_lo, v9, s6
	v_add_co_ci_u32_e32 v1, vcc_lo, s7, v10, vcc_lo
	v_cmp_eq_u64_e32 vcc_lo, 0, v[0:1]
	v_cndmask_b32_e32 v1, v1, v10, vcc_lo
	v_cndmask_b32_e32 v0, v0, v9, vcc_lo
	v_and_b32_e32 v3, v1, v3
	v_and_b32_e32 v2, v0, v2
	v_mul_lo_u32 v3, v3, 24
	v_mul_hi_u32 v9, v2, 24
	v_mul_lo_u32 v2, v2, 24
	v_add_nc_u32_e32 v3, v9, v3
	s_waitcnt vmcnt(0)
	v_add_co_u32 v4, vcc_lo, v4, v2
	v_mov_b32_e32 v2, v7
	v_add_co_ci_u32_e32 v5, vcc_lo, v5, v3, vcc_lo
	v_mov_b32_e32 v3, v8
	global_store_dwordx2 v[4:5], v[7:8], off
	s_waitcnt_vscnt null, 0x0
	global_atomic_cmpswap_x2 v[2:3], v6, v[0:3], s[38:39] offset:24 glc
	s_waitcnt vmcnt(0)
	v_cmp_ne_u64_e32 vcc_lo, v[2:3], v[7:8]
	s_and_b32 exec_lo, exec_lo, vcc_lo
	s_cbranch_execz .LBB6_1710
; %bb.1708:
	s_mov_b32 s4, 0
.LBB6_1709:                             ; =>This Inner Loop Header: Depth=1
	s_sleep 1
	global_store_dwordx2 v[4:5], v[2:3], off
	s_waitcnt_vscnt null, 0x0
	global_atomic_cmpswap_x2 v[7:8], v6, v[0:3], s[38:39] offset:24 glc
	s_waitcnt vmcnt(0)
	v_cmp_eq_u64_e32 vcc_lo, v[7:8], v[2:3]
	v_mov_b32_e32 v2, v7
	v_mov_b32_e32 v3, v8
	s_or_b32 s4, vcc_lo, s4
	s_andn2_b32 exec_lo, exec_lo, s4
	s_cbranch_execnz .LBB6_1709
.LBB6_1710:
	s_or_b32 exec_lo, exec_lo, s5
	s_clause 0x1
	buffer_load_dword v0, off, s[0:3], 0 offset:32
	buffer_load_dword v1, off, s[0:3], 0 offset:36
	s_waitcnt vmcnt(0)
	flat_load_dword v2, v[0:1]
	s_waitcnt vmcnt(0) lgkmcnt(0)
	v_add_nc_u32_e32 v2, 1, v2
	flat_store_dword v[0:1], v2
.LBB6_1711:
	s_or_b32 exec_lo, exec_lo, s41
	s_add_u32 s8, s48, 16
	s_addc_u32 s9, s49, 0
	s_mov_b32 s12, s54
	s_mov_b32 s13, s53
	s_mov_b32 s14, s52
	s_getpc_b64 s[4:5]
	s_add_u32 s4, s4, _ZN8migraphx4test4failEv@rel32@lo+4
	s_addc_u32 s5, s5, _ZN8migraphx4test4failEv@rel32@hi+12
	s_swappc_b64 s[30:31], s[4:5]
	; divergent unreachable
.LBB6_1712:
	s_or_saveexec_b32 s5, s40
	s_mov_b32 s4, 0
	s_xor_b32 exec_lo, exec_lo, s5
; %bb.1713:
	s_mov_b32 s4, exec_lo
; %bb.1714:
	s_or_b32 exec_lo, exec_lo, s5
	s_and_saveexec_b32 s5, s4
	s_endpgm
	.section	.rodata,"a",@progbits
	.p2align	6, 0x0
	.amdhsa_kernel gpu_test_kernel
		.amdhsa_group_segment_fixed_size 3072
		.amdhsa_private_segment_fixed_size 80
		.amdhsa_kernarg_size 272
		.amdhsa_user_sgpr_count 10
		.amdhsa_user_sgpr_private_segment_buffer 1
		.amdhsa_user_sgpr_dispatch_ptr 1
		.amdhsa_user_sgpr_queue_ptr 0
		.amdhsa_user_sgpr_kernarg_segment_ptr 1
		.amdhsa_user_sgpr_dispatch_id 0
		.amdhsa_user_sgpr_flat_scratch_init 1
		.amdhsa_user_sgpr_private_segment_size 0
		.amdhsa_wavefront_size32 1
		.amdhsa_uses_dynamic_stack 0
		.amdhsa_system_sgpr_private_segment_wavefront_offset 1
		.amdhsa_system_sgpr_workgroup_id_x 1
		.amdhsa_system_sgpr_workgroup_id_y 1
		.amdhsa_system_sgpr_workgroup_id_z 1
		.amdhsa_system_sgpr_workgroup_info 0
		.amdhsa_system_vgpr_workitem_id 2
		.amdhsa_next_free_vgpr 52
		.amdhsa_next_free_sgpr 66
		.amdhsa_reserve_vcc 1
		.amdhsa_reserve_flat_scratch 1
		.amdhsa_float_round_mode_32 0
		.amdhsa_float_round_mode_16_64 0
		.amdhsa_float_denorm_mode_32 3
		.amdhsa_float_denorm_mode_16_64 3
		.amdhsa_dx10_clamp 1
		.amdhsa_ieee_mode 1
		.amdhsa_fp16_overflow 0
		.amdhsa_workgroup_processor_mode 1
		.amdhsa_memory_ordered 1
		.amdhsa_forward_progress 0
		.amdhsa_shared_vgpr_count 0
		.amdhsa_exception_fp_ieee_invalid_op 0
		.amdhsa_exception_fp_denorm_src 0
		.amdhsa_exception_fp_ieee_div_zero 0
		.amdhsa_exception_fp_ieee_overflow 0
		.amdhsa_exception_fp_ieee_underflow 0
		.amdhsa_exception_fp_ieee_inexact 0
		.amdhsa_exception_int_div_zero 0
	.end_amdhsa_kernel
	.text
.Lfunc_end6:
	.size	gpu_test_kernel, .Lfunc_end6-gpu_test_kernel
                                        ; -- End function
	.section	.AMDGPU.csdata,"",@progbits
; Kernel info:
; codeLenInByte = 63292
; NumSgprs: 68
; NumVgprs: 52
; ScratchSize: 80
; MemoryBound: 0
; FloatMode: 240
; IeeeMode: 1
; LDSByteSize: 3072 bytes/workgroup (compile time only)
; SGPRBlocks: 8
; VGPRBlocks: 6
; NumSGPRsForWavesPerEU: 68
; NumVGPRsForWavesPerEU: 52
; Occupancy: 16
; WaveLimiterHint : 1
; COMPUTE_PGM_RSRC2:SCRATCH_EN: 1
; COMPUTE_PGM_RSRC2:USER_SGPR: 10
; COMPUTE_PGM_RSRC2:TRAP_HANDLER: 0
; COMPUTE_PGM_RSRC2:TGID_X_EN: 1
; COMPUTE_PGM_RSRC2:TGID_Y_EN: 1
; COMPUTE_PGM_RSRC2:TGID_Z_EN: 1
; COMPUTE_PGM_RSRC2:TIDIG_COMP_CNT: 2
	.text
	.p2alignl 6, 3214868480
	.fill 48, 4, 3214868480
	.type	__PRETTY_FUNCTION__._ZL29array_apply_complex_operationRN8migraphx4test12test_managerE,@object ; @__PRETTY_FUNCTION__._ZL29array_apply_complex_operationRN8migraphx4test12test_managerE
	.section	.rodata.str1.1,"aMS",@progbits,1
__PRETTY_FUNCTION__._ZL29array_apply_complex_operationRN8migraphx4test12test_managerE:
	.asciz	"void array_apply_complex_operation(migraphx::test::test_manager &)"
	.size	__PRETTY_FUNCTION__._ZL29array_apply_complex_operationRN8migraphx4test12test_managerE, 67

	.type	.str.1,@object                  ; @.str.1
.str.1:
	.asciz	"/root/src/amdgpu-assembly/repos/ROCm__AMDMIGraphX/_shim/test_array_15_shim.cpp"
	.size	.str.1, 79

	.type	.str.2,@object                  ; @.str.2
.str.2:
	.asciz	"result[1] == 5"
	.size	.str.2, 15

	.type	.str.3,@object                  ; @.str.3
.str.3:
	.asciz	"result[2] == 10"
	.size	.str.3, 16

	.type	.str.4,@object                  ; @.str.4
.str.4:
	.asciz	"result[3] == 17"
	.size	.str.4, 16

	.type	.str.5,@object                  ; @.str.5
.str.5:
	.asciz	"    FAILED: "
	.size	.str.5, 13

	.type	.str.6,@object                  ; @.str.6
.str.6:
	.asciz	" [ "
	.size	.str.6, 4

	.type	.str.7,@object                  ; @.str.7
.str.7:
	.asciz	" ]"
	.size	.str.7, 3

	.type	.str.8,@object                  ; @.str.8
.str.8:
	.asciz	"%s"
	.size	.str.8, 3

	.type	.str.9,@object                  ; @.str.9
.str.9:
	.asciz	"%c"
	.size	.str.9, 3

	.type	.str.10,@object                 ; @.str.10
.str.10:
	.asciz	"%li"
	.size	.str.10, 4

	.type	.str.11,@object                 ; @.str.11
.str.11:
	.asciz	" "
	.size	.str.11, 2

	.type	.str.13,@object                 ; @.str.13
.str.13:
	.asciz	"=="
	.size	.str.13, 3

	.type	__PRETTY_FUNCTION__._ZL19make_array_functionRN8migraphx4test12test_managerE,@object ; @__PRETTY_FUNCTION__._ZL19make_array_functionRN8migraphx4test12test_managerE
__PRETTY_FUNCTION__._ZL19make_array_functionRN8migraphx4test12test_managerE:
	.asciz	"void make_array_function(migraphx::test::test_manager &)"
	.size	__PRETTY_FUNCTION__._ZL19make_array_functionRN8migraphx4test12test_managerE, 57

	.type	.str.15,@object                 ; @.str.15
.str.15:
	.asciz	"arr[0] == 1"
	.size	.str.15, 12

	.type	.str.16,@object                 ; @.str.16
.str.16:
	.asciz	"arr[1] == 2"
	.size	.str.16, 12

	.type	.str.17,@object                 ; @.str.17
.str.17:
	.asciz	"arr[2] == 3"
	.size	.str.17, 12

	.type	.str.18,@object                 ; @.str.18
.str.18:
	.asciz	"arr[3] == 4"
	.size	.str.18, 12

	.type	__PRETTY_FUNCTION__._ZL26make_array_type_conversionRN8migraphx4test12test_managerE,@object ; @__PRETTY_FUNCTION__._ZL26make_array_type_conversionRN8migraphx4test12test_managerE
__PRETTY_FUNCTION__._ZL26make_array_type_conversionRN8migraphx4test12test_managerE:
	.asciz	"void make_array_type_conversion(migraphx::test::test_manager &)"
	.size	__PRETTY_FUNCTION__._ZL26make_array_type_conversionRN8migraphx4test12test_managerE, 64

	.type	__PRETTY_FUNCTION__._ZL25make_array_single_elementRN8migraphx4test12test_managerE,@object ; @__PRETTY_FUNCTION__._ZL25make_array_single_elementRN8migraphx4test12test_managerE
__PRETTY_FUNCTION__._ZL25make_array_single_elementRN8migraphx4test12test_managerE:
	.asciz	"void make_array_single_element(migraphx::test::test_manager &)"
	.size	__PRETTY_FUNCTION__._ZL25make_array_single_elementRN8migraphx4test12test_managerE, 63

	.type	.str.21,@object                 ; @.str.21
.str.21:
	.asciz	"arr[0] == 42"
	.size	.str.21, 13

	.type	__PRETTY_FUNCTION__._ZL22make_array_mixed_typesRN8migraphx4test12test_managerE,@object ; @__PRETTY_FUNCTION__._ZL22make_array_mixed_typesRN8migraphx4test12test_managerE
__PRETTY_FUNCTION__._ZL22make_array_mixed_typesRN8migraphx4test12test_managerE:
	.asciz	"void make_array_mixed_types(migraphx::test::test_manager &)"
	.size	__PRETTY_FUNCTION__._ZL22make_array_mixed_typesRN8migraphx4test12test_managerE, 60

	.type	.str.23,@object                 ; @.str.23
.str.23:
	.asciz	"migraphx::float_equal(arr[0], 1.0)"
	.size	.str.23, 35

	.type	.str.24,@object                 ; @.str.24
.str.24:
	.asciz	"migraphx::float_equal(arr[1], 2.0)"
	.size	.str.24, 35

	.type	.str.25,@object                 ; @.str.25
.str.25:
	.asciz	"migraphx::float_equal(arr[2], 3.5)"
	.size	.str.25, 35

	.type	.str.26,@object                 ; @.str.26
.str.26:
	.asciz	"true"
	.size	.str.26, 5

	.type	.str.27,@object                 ; @.str.27
.str.27:
	.asciz	"false"
	.size	.str.27, 6

	.type	__PRETTY_FUNCTION__._ZL26integral_const_array_basicRN8migraphx4test12test_managerE,@object ; @__PRETTY_FUNCTION__._ZL26integral_const_array_basicRN8migraphx4test12test_managerE
__PRETTY_FUNCTION__._ZL26integral_const_array_basicRN8migraphx4test12test_managerE:
	.asciz	"void integral_const_array_basic(migraphx::test::test_manager &)"
	.size	__PRETTY_FUNCTION__._ZL26integral_const_array_basicRN8migraphx4test12test_managerE, 64

	.type	.str.29,@object                 ; @.str.29
.str.29:
	.asciz	"const_arr[0] == 1"
	.size	.str.29, 18

	.type	.str.30,@object                 ; @.str.30
.str.30:
	.asciz	"const_arr[1] == 2"
	.size	.str.30, 18

	.type	.str.31,@object                 ; @.str.31
.str.31:
	.asciz	"const_arr[2] == 3"
	.size	.str.31, 18

	.type	__hip_cuid_cabac7d230a3f583,@object ; @__hip_cuid_cabac7d230a3f583
	.section	.bss,"aw",@nobits
	.globl	__hip_cuid_cabac7d230a3f583
__hip_cuid_cabac7d230a3f583:
	.byte	0                               ; 0x0
	.size	__hip_cuid_cabac7d230a3f583, 1

	.ident	"AMD clang version 19.0.0git (https://github.com/RadeonOpenCompute/llvm-project roc-6.4.0 25133 c7fe45cf4b819c5991fe208aaa96edf142730f1d)"
	.section	".note.GNU-stack","",@progbits
	.addrsig
	.addrsig_sym __hip_cuid_cabac7d230a3f583
	.amdgpu_metadata
---
amdhsa.kernels:
  - .args:
      - .offset:         0
        .size:           4
        .value_kind:     by_value
      - .address_space:  global
        .offset:         8
        .size:           8
        .value_kind:     global_buffer
      - .offset:         16
        .size:           4
        .value_kind:     hidden_block_count_x
      - .offset:         20
        .size:           4
        .value_kind:     hidden_block_count_y
      - .offset:         24
        .size:           4
        .value_kind:     hidden_block_count_z
      - .offset:         28
        .size:           2
        .value_kind:     hidden_group_size_x
      - .offset:         30
        .size:           2
        .value_kind:     hidden_group_size_y
      - .offset:         32
        .size:           2
        .value_kind:     hidden_group_size_z
      - .offset:         34
        .size:           2
        .value_kind:     hidden_remainder_x
      - .offset:         36
        .size:           2
        .value_kind:     hidden_remainder_y
      - .offset:         38
        .size:           2
        .value_kind:     hidden_remainder_z
      - .offset:         56
        .size:           8
        .value_kind:     hidden_global_offset_x
      - .offset:         64
        .size:           8
        .value_kind:     hidden_global_offset_y
      - .offset:         72
        .size:           8
        .value_kind:     hidden_global_offset_z
      - .offset:         80
        .size:           2
        .value_kind:     hidden_grid_dims
      - .offset:         96
        .size:           8
        .value_kind:     hidden_hostcall_buffer
    .group_segment_fixed_size: 3072
    .kernarg_segment_align: 8
    .kernarg_segment_size: 272
    .language:       OpenCL C
    .language_version:
      - 2
      - 0
    .max_flat_workgroup_size: 1024
    .name:           gpu_test_kernel
    .private_segment_fixed_size: 80
    .sgpr_count:     68
    .sgpr_spill_count: 0
    .symbol:         gpu_test_kernel.kd
    .uniform_work_group_size: 1
    .uses_dynamic_stack: false
    .vgpr_count:     52
    .vgpr_spill_count: 0
    .wavefront_size: 32
    .workgroup_processor_mode: 1
amdhsa.target:   amdgcn-amd-amdhsa--gfx1030
amdhsa.version:
  - 1
  - 2
...

	.end_amdgpu_metadata
